;; amdgpu-corpus repo=pytorch/pytorch kind=compiled arch=gfx906 opt=O3
	.amdgcn_target "amdgcn-amd-amdhsa--gfx906"
	.amdhsa_code_object_version 6
	.section	.text._ZN2at6native13vol2im_kernelIddEEvlPKT_jjjjjjjjjjjjjjjjjjjPS2_,"axG",@progbits,_ZN2at6native13vol2im_kernelIddEEvlPKT_jjjjjjjjjjjjjjjjjjjPS2_,comdat
	.protected	_ZN2at6native13vol2im_kernelIddEEvlPKT_jjjjjjjjjjjjjjjjjjjPS2_ ; -- Begin function _ZN2at6native13vol2im_kernelIddEEvlPKT_jjjjjjjjjjjjjjjjjjjPS2_
	.globl	_ZN2at6native13vol2im_kernelIddEEvlPKT_jjjjjjjjjjjjjjjjjjjPS2_
	.p2align	8
	.type	_ZN2at6native13vol2im_kernelIddEEvlPKT_jjjjjjjjjjjjjjjjjjjPS2_,@function
_ZN2at6native13vol2im_kernelIddEEvlPKT_jjjjjjjjjjjjjjjjjjjPS2_: ; @_ZN2at6native13vol2im_kernelIddEEvlPKT_jjjjjjjjjjjjjjjjjjjPS2_
; %bb.0:
	s_load_dword s2, s[4:5], 0x74
	s_load_dwordx4 s[24:27], s[4:5], 0x0
	s_add_u32 s0, s4, 0x68
	v_mov_b32_e32 v2, 0
	s_addc_u32 s1, s5, 0
	s_waitcnt lgkmcnt(0)
	s_and_b32 s2, s2, 0xffff
	v_mov_b32_e32 v1, v2
	v_mov_b32_e32 v3, s6
	v_mad_u64_u32 v[0:1], s[6:7], s2, v3, v[0:1]
	v_cmp_gt_i64_e32 vcc, s[24:25], v[0:1]
	s_and_saveexec_b64 s[6:7], vcc
	s_cbranch_execz .LBB0_27
; %bb.1:
	s_load_dwordx4 s[28:31], s[4:5], 0x10
	s_load_dwordx8 s[8:15], s[4:5], 0x20
	s_load_dwordx8 s[16:23], s[4:5], 0x40
	s_load_dwordx2 s[34:35], s[4:5], 0x60
	s_load_dword s3, s[0:1], 0x0
	s_waitcnt lgkmcnt(0)
	v_cvt_f32_u32_e32 v3, s30
	v_cvt_f32_u32_e32 v4, s29
	;; [unrolled: 1-line block ×3, first 2 shown]
	s_add_i32 s0, s10, -1
	v_rcp_iflag_f32_e32 v3, v3
	v_rcp_iflag_f32_e32 v4, v4
	;; [unrolled: 1-line block ×3, first 2 shown]
	s_mul_i32 s33, s19, s0
	v_mul_f32_e32 v3, 0x4f7ffffe, v3
	v_cvt_u32_f32_e32 v3, v3
	s_add_i32 s0, s9, -1
	s_mul_i32 s58, s18, s0
	s_add_i32 s0, s8, -1
	v_mul_f32_e32 v4, 0x4f7ffffe, v4
	s_mul_i32 s59, s17, s0
	s_sub_i32 s0, 0, s30
	v_cvt_u32_f32_e32 v4, v4
	v_mul_f32_e32 v5, 0x4f7ffffe, v5
	v_mul_lo_u32 v6, s0, v3
	v_cvt_u32_f32_e32 v5, v5
	s_sub_i32 s0, 0, s29
	v_mul_lo_u32 v7, s0, v4
	s_sub_i32 s0, 0, s28
	v_mul_hi_u32 v6, v3, v6
	v_mul_lo_u32 v8, s0, v5
	s_mul_i32 s31, s29, s30
	s_mul_i32 s31, s31, s28
	v_cvt_f32_u32_e32 v9, s31
	v_add_u32_e32 v19, v3, v6
	v_mul_hi_u32 v3, v4, v7
	v_mul_hi_u32 v6, v5, v8
	v_cvt_f32_u32_e32 v8, s16
	v_rcp_iflag_f32_e32 v7, v9
	v_add_u32_e32 v20, v4, v3
	v_add_u32_e32 v21, v5, v6
	v_rcp_iflag_f32_e32 v4, v8
	v_cvt_f32_u32_e32 v5, s15
	v_mul_f32_e32 v3, 0x4f7ffffe, v7
	v_cvt_u32_f32_e32 v3, v3
	v_mul_f32_e32 v4, 0x4f7ffffe, v4
	v_rcp_iflag_f32_e32 v5, v5
	v_cvt_u32_f32_e32 v4, v4
	s_sub_i32 s0, 0, s31
	v_mul_lo_u32 v6, s0, v3
	s_sub_i32 s0, 0, s16
	v_mul_f32_e32 v5, 0x4f7ffffe, v5
	v_mul_lo_u32 v7, s0, v4
	v_cvt_u32_f32_e32 v5, v5
	s_sub_i32 s0, 0, s15
	v_mul_hi_u32 v6, v3, v6
	v_mul_hi_u32 v7, v4, v7
	v_mul_lo_u32 v9, s0, v5
	v_cvt_f32_u32_e32 v8, s14
	v_add_u32_e32 v22, v3, v6
	v_add_u32_e32 v23, v4, v7
	v_mul_hi_u32 v4, v5, v9
	v_cvt_f32_u32_e32 v6, s17
	v_cvt_f32_u32_e32 v7, s19
	v_rcp_iflag_f32_e32 v3, v8
	v_add_u32_e32 v24, v5, v4
	v_rcp_iflag_f32_e32 v4, v6
	v_cvt_f32_u32_e32 v6, s18
	v_rcp_iflag_f32_e32 v7, v7
	v_mul_f32_e32 v3, 0x4f7ffffe, v3
	v_cvt_u32_f32_e32 v3, v3
	v_rcp_iflag_f32_e32 v6, v6
	v_mul_f32_e32 v4, 0x4f7ffffe, v4
	v_cvt_u32_f32_e32 v4, v4
	v_mul_f32_e32 v7, 0x4f7ffffe, v7
	v_mul_f32_e32 v6, 0x4f7ffffe, v6
	v_cvt_u32_f32_e32 v6, v6
	s_sub_i32 s0, 0, s14
	v_cvt_u32_f32_e32 v7, v7
	v_mul_lo_u32 v5, s0, v3
	s_sub_i32 s0, 0, s17
	v_mul_lo_u32 v8, s0, v4
	s_sub_i32 s0, 0, s18
	;; [unrolled: 2-line block ×3, first 2 shown]
	v_mul_lo_u32 v10, s0, v7
	v_mul_hi_u32 v5, v3, v5
	v_mul_hi_u32 v8, v4, v8
	;; [unrolled: 1-line block ×4, first 2 shown]
	s_mov_b32 s23, 0
	s_add_i32 s33, s33, 1
	s_add_i32 s58, s58, 1
	;; [unrolled: 1-line block ×3, first 2 shown]
	s_mov_b32 s60, s21
	s_mul_i32 s61, s3, s2
	v_add_u32_e32 v25, v3, v5
	v_add_u32_e32 v26, v4, v8
	;; [unrolled: 1-line block ×4, first 2 shown]
	s_lshl_b64 s[36:37], s[22:23], 3
	s_mov_b64 s[38:39], 0
	s_branch .LBB0_4
.LBB0_2:                                ;   in Loop: Header=BB0_4 Depth=1
	s_or_b64 exec, exec, s[42:43]
.LBB0_3:                                ;   in Loop: Header=BB0_4 Depth=1
	s_or_b64 exec, exec, s[40:41]
	v_mov_b32_e32 v3, v0
	v_add_co_u32_e32 v0, vcc, s61, v0
	v_ashrrev_i64 v[3:4], 29, v[2:3]
	v_addc_co_u32_e32 v1, vcc, 0, v1, vcc
	v_cmp_le_i64_e32 vcc, s[24:25], v[0:1]
	v_mov_b32_e32 v5, s35
	v_add_co_u32_e64 v3, s[0:1], s34, v3
	v_addc_co_u32_e64 v4, s[0:1], v5, v4, s[0:1]
	s_or_b64 s[38:39], vcc, s[38:39]
	global_store_dwordx2 v[3:4], v[11:12], off
	s_andn2_b64 exec, exec, s[38:39]
	s_cbranch_execz .LBB0_27
.LBB0_4:                                ; =>This Loop Header: Depth=1
                                        ;     Child Loop BB0_14 Depth 2
                                        ;       Child Loop BB0_18 Depth 3
                                        ;         Child Loop BB0_23 Depth 4
	v_mul_hi_u32 v3, v0, v19
	v_mul_lo_u32 v4, v3, s30
	v_add_u32_e32 v5, 1, v3
	v_sub_u32_e32 v4, v0, v4
	v_cmp_le_u32_e32 vcc, s30, v4
	v_cndmask_b32_e32 v3, v3, v5, vcc
	v_subrev_u32_e32 v5, s30, v4
	v_cndmask_b32_e32 v4, v4, v5, vcc
	v_add_u32_e32 v5, 1, v3
	v_cmp_le_u32_e32 vcc, s30, v4
	v_cndmask_b32_e32 v6, v3, v5, vcc
	v_mul_lo_u32 v8, v6, s30
	v_mov_b32_e32 v3, 0
	v_mov_b32_e32 v5, 0
	v_sub_u32_e32 v4, v0, v8
	v_add_u32_e32 v4, s13, v4
	v_cmp_le_u32_e32 vcc, s33, v4
	s_and_saveexec_b64 s[0:1], vcc
	s_cbranch_execz .LBB0_6
; %bb.5:                                ;   in Loop: Header=BB0_4 Depth=1
	v_subrev_u32_e32 v5, s33, v4
	v_mul_hi_u32 v7, v5, v23
	v_mul_lo_u32 v9, v7, s16
	v_add_u32_e32 v10, 1, v7
	v_sub_u32_e32 v5, v5, v9
	v_cmp_le_u32_e32 vcc, s16, v5
	v_subrev_u32_e32 v9, s16, v5
	v_cndmask_b32_e32 v7, v7, v10, vcc
	v_cndmask_b32_e32 v5, v5, v9, vcc
	v_add_u32_e32 v9, 1, v7
	v_cmp_le_u32_e32 vcc, s16, v5
	v_cndmask_b32_e32 v5, v7, v9, vcc
	v_add_u32_e32 v5, 1, v5
.LBB0_6:                                ;   in Loop: Header=BB0_4 Depth=1
	s_or_b64 exec, exec, s[0:1]
	v_mul_hi_u32 v7, v6, v20
	v_mul_lo_u32 v9, v7, s29
	v_add_u32_e32 v10, 1, v7
	v_sub_u32_e32 v9, v6, v9
	v_cmp_le_u32_e32 vcc, s29, v9
	v_cndmask_b32_e32 v7, v7, v10, vcc
	v_subrev_u32_e32 v10, s29, v9
	v_cndmask_b32_e32 v9, v9, v10, vcc
	v_add_u32_e32 v10, 1, v7
	v_cmp_le_u32_e32 vcc, s29, v9
	v_cndmask_b32_e32 v7, v7, v10, vcc
	v_mul_lo_u32 v9, v7, s29
	v_sub_u32_e32 v6, v6, v9
	v_add_u32_e32 v29, s12, v6
	v_cmp_le_u32_e32 vcc, s58, v29
	s_and_saveexec_b64 s[0:1], vcc
	s_cbranch_execz .LBB0_8
; %bb.7:                                ;   in Loop: Header=BB0_4 Depth=1
	v_subrev_u32_e32 v3, s58, v29
	v_mul_hi_u32 v6, v3, v24
	v_mul_lo_u32 v9, v6, s15
	v_add_u32_e32 v10, 1, v6
	v_sub_u32_e32 v3, v3, v9
	v_cmp_le_u32_e32 vcc, s15, v3
	v_subrev_u32_e32 v9, s15, v3
	v_cndmask_b32_e32 v6, v6, v10, vcc
	v_cndmask_b32_e32 v3, v3, v9, vcc
	v_add_u32_e32 v9, 1, v6
	v_cmp_le_u32_e32 vcc, s15, v3
	v_cndmask_b32_e32 v3, v6, v9, vcc
	v_add_u32_e32 v3, 1, v3
.LBB0_8:                                ;   in Loop: Header=BB0_4 Depth=1
	s_or_b64 exec, exec, s[0:1]
	v_mul_hi_u32 v6, v7, v21
	v_mul_lo_u32 v6, v6, s28
	v_sub_u32_e32 v6, v7, v6
	v_subrev_u32_e32 v7, s28, v6
	v_cmp_le_u32_e32 vcc, s28, v6
	v_cndmask_b32_e32 v6, v6, v7, vcc
	v_subrev_u32_e32 v7, s28, v6
	v_cmp_le_u32_e32 vcc, s28, v6
	v_cndmask_b32_e32 v6, v6, v7, vcc
	v_add_u32_e32 v30, s11, v6
	v_cmp_le_u32_e32 vcc, s59, v30
	v_mov_b32_e32 v7, 0
	s_and_saveexec_b64 s[0:1], vcc
	s_cbranch_execz .LBB0_10
; %bb.9:                                ;   in Loop: Header=BB0_4 Depth=1
	v_subrev_u32_e32 v6, s59, v30
	v_mul_hi_u32 v7, v6, v25
	v_mul_lo_u32 v9, v7, s14
	v_add_u32_e32 v10, 1, v7
	v_sub_u32_e32 v6, v6, v9
	v_cmp_le_u32_e32 vcc, s14, v6
	v_subrev_u32_e32 v9, s14, v6
	v_cndmask_b32_e32 v7, v7, v10, vcc
	v_cndmask_b32_e32 v6, v6, v9, vcc
	v_add_u32_e32 v9, 1, v7
	v_cmp_le_u32_e32 vcc, s14, v6
	v_cndmask_b32_e32 v6, v7, v9, vcc
	v_add_u32_e32 v7, 1, v6
.LBB0_10:                               ;   in Loop: Header=BB0_4 Depth=1
	s_or_b64 exec, exec, s[0:1]
	v_mul_hi_u32 v6, v30, v25
	v_mov_b32_e32 v11, 0
	v_mov_b32_e32 v12, 0
	v_mul_lo_u32 v9, v6, s14
	v_add_u32_e32 v10, 1, v6
	v_sub_u32_e32 v9, v30, v9
	v_cmp_le_u32_e32 vcc, s14, v9
	v_cndmask_b32_e32 v6, v6, v10, vcc
	v_subrev_u32_e32 v10, s14, v9
	v_cndmask_b32_e32 v9, v9, v10, vcc
	v_add_u32_e32 v10, 1, v6
	v_cmp_le_u32_e32 vcc, s14, v9
	v_cndmask_b32_e32 v6, v6, v10, vcc
	v_add_u32_e32 v6, 1, v6
	v_min_u32_e32 v31, s20, v6
	v_cmp_lt_u32_e32 vcc, v7, v31
	s_and_saveexec_b64 s[40:41], vcc
	s_cbranch_execz .LBB0_3
; %bb.11:                               ;   in Loop: Header=BB0_4 Depth=1
	v_mul_hi_u32 v11, v29, v24
	v_mov_b32_e32 v6, v2
	v_lshlrev_b64 v[9:10], 3, v[5:6]
	v_mov_b32_e32 v12, s27
	v_mul_lo_u32 v6, v11, s15
	v_add_co_u32_e32 v9, vcc, s26, v9
	v_addc_co_u32_e32 v10, vcc, v12, v10, vcc
	v_sub_u32_e32 v6, v29, v6
	v_add_u32_e32 v12, 1, v11
	v_cmp_le_u32_e32 vcc, s15, v6
	v_cndmask_b32_e32 v11, v11, v12, vcc
	v_mul_hi_u32 v12, v4, v23
	v_subrev_u32_e32 v13, s15, v6
	v_cndmask_b32_e32 v6, v6, v13, vcc
	v_add_u32_e32 v13, 1, v11
	v_mul_lo_u32 v14, v12, s16
	v_cmp_le_u32_e32 vcc, s15, v6
	v_cndmask_b32_e32 v6, v11, v13, vcc
	v_add_u32_e32 v11, 1, v12
	v_sub_u32_e32 v4, v4, v14
	v_cmp_le_u32_e32 vcc, s16, v4
	v_cndmask_b32_e32 v11, v12, v11, vcc
	v_mul_hi_u32 v12, v0, v22
	v_subrev_u32_e32 v13, s16, v4
	v_cndmask_b32_e32 v4, v4, v13, vcc
	v_add_u32_e32 v13, 1, v11
	v_mul_lo_u32 v14, v12, s31
	v_cmp_le_u32_e32 vcc, s16, v4
	v_cndmask_b32_e32 v4, v11, v13, vcc
	v_add_u32_e32 v4, 1, v4
	v_min_u32_e32 v32, s22, v4
	v_sub_u32_e32 v4, v0, v14
	v_add_u32_e32 v11, 1, v12
	v_cmp_le_u32_e32 vcc, s31, v4
	v_cndmask_b32_e32 v11, v12, v11, vcc
	v_subrev_u32_e32 v12, s31, v4
	v_cndmask_b32_e32 v4, v4, v12, vcc
	v_add_u32_e32 v12, 1, v11
	v_cmp_le_u32_e32 vcc, s31, v4
	v_cndmask_b32_e32 v4, v11, v12, vcc
	v_mul_lo_u32 v11, s16, v5
	v_mul_lo_u32 v33, v4, s8
	v_add_u32_e32 v12, s13, v0
	v_add_u32_e32 v6, 1, v6
	v_sub_u32_e32 v11, v12, v11
	v_min_u32_e32 v6, s21, v6
	v_sub_u32_e32 v34, v11, v8
	v_mov_b32_e32 v11, 0
	v_cmp_lt_u32_e32 vcc, v3, v6
	v_cmp_lt_u32_e64 s[0:1], v5, v32
	v_mov_b32_e32 v4, v2
	v_mov_b32_e32 v12, 0
	s_mov_b64 s[42:43], 0
	v_mov_b32_e32 v8, v2
	s_branch .LBB0_14
.LBB0_12:                               ;   in Loop: Header=BB0_14 Depth=2
	s_or_b64 exec, exec, s[46:47]
.LBB0_13:                               ;   in Loop: Header=BB0_14 Depth=2
	s_or_b64 exec, exec, s[44:45]
	v_add_co_u32_e64 v7, s[2:3], 1, v7
	v_addc_co_u32_e64 v8, s[2:3], 0, v8, s[2:3]
	v_cmp_ge_u32_e64 s[2:3], v7, v31
	s_or_b64 s[42:43], s[2:3], s[42:43]
	s_andn2_b64 exec, exec, s[42:43]
	s_cbranch_execz .LBB0_2
.LBB0_14:                               ;   Parent Loop BB0_4 Depth=1
                                        ; =>  This Loop Header: Depth=2
                                        ;       Child Loop BB0_18 Depth 3
                                        ;         Child Loop BB0_23 Depth 4
	s_and_saveexec_b64 s[44:45], vcc
	s_cbranch_execz .LBB0_13
; %bb.15:                               ;   in Loop: Header=BB0_14 Depth=2
	v_mul_lo_u32 v13, v7, s14
	s_mov_b64 s[46:47], 0
	v_sub_u32_e32 v16, v30, v13
	v_mul_hi_u32 v13, v16, v26
	v_mul_lo_u32 v14, v13, s17
	v_add_u32_e32 v15, 1, v13
	v_sub_u32_e32 v14, v16, v14
	v_cmp_le_u32_e64 s[2:3], s17, v14
	v_cndmask_b32_e64 v13, v13, v15, s[2:3]
	v_subrev_u32_e32 v15, s17, v14
	v_cndmask_b32_e64 v14, v14, v15, s[2:3]
	v_add_u32_e32 v15, 1, v13
	v_cmp_le_u32_e64 s[2:3], s17, v14
	v_cndmask_b32_e64 v15, v13, v15, s[2:3]
	v_add_co_u32_e64 v13, s[2:3], v15, v33
	v_addc_co_u32_e64 v17, s[2:3], 0, 0, s[2:3]
	v_mad_u64_u32 v[13:14], s[2:3], v13, s9, 0
	v_mul_lo_u32 v18, v15, s17
	v_mad_u64_u32 v[14:15], s[2:3], v17, s9, v[14:15]
	v_sub_u32_e32 v15, v16, v18
	v_cmp_eq_u32_e64 s[2:3], 0, v15
	v_mov_b32_e32 v35, v14
	v_mov_b32_e32 v15, v4
	;; [unrolled: 1-line block ×3, first 2 shown]
	s_branch .LBB0_18
.LBB0_16:                               ;   in Loop: Header=BB0_18 Depth=3
	s_or_b64 exec, exec, s[50:51]
.LBB0_17:                               ;   in Loop: Header=BB0_18 Depth=3
	s_or_b64 exec, exec, s[48:49]
	v_add_co_u32_e64 v14, s[4:5], 1, v14
	v_addc_co_u32_e64 v15, s[4:5], 0, v15, s[4:5]
	v_cmp_ge_u32_e64 s[4:5], v14, v6
	s_or_b64 s[46:47], s[4:5], s[46:47]
	s_andn2_b64 exec, exec, s[46:47]
	s_cbranch_execz .LBB0_12
.LBB0_18:                               ;   Parent Loop BB0_4 Depth=1
                                        ;     Parent Loop BB0_14 Depth=2
                                        ; =>    This Loop Header: Depth=3
                                        ;         Child Loop BB0_23 Depth 4
	s_and_saveexec_b64 s[48:49], s[0:1]
	s_cbranch_execz .LBB0_17
; %bb.19:                               ;   in Loop: Header=BB0_18 Depth=3
	v_mul_lo_u32 v16, v14, s15
	s_mov_b64 s[50:51], 0
	v_sub_u32_e32 v37, v29, v16
	v_mul_hi_u32 v16, v37, v27
	v_mul_lo_u32 v17, v16, s18
	v_add_u32_e32 v18, 1, v16
	v_sub_u32_e32 v17, v37, v17
	v_cmp_le_u32_e64 s[4:5], s18, v17
	v_cndmask_b32_e64 v16, v16, v18, s[4:5]
	v_subrev_u32_e32 v18, s18, v17
	v_cndmask_b32_e64 v17, v17, v18, s[4:5]
	v_add_u32_e32 v18, 1, v16
	v_cmp_le_u32_e64 s[4:5], s18, v17
	v_cndmask_b32_e64 v18, v16, v18, s[4:5]
	v_add_co_u32_e64 v16, s[4:5], v13, v18
	v_addc_co_u32_e64 v36, s[4:5], 0, v35, s[4:5]
	v_mad_u64_u32 v[16:17], s[4:5], v16, s10, 0
	v_mul_lo_u32 v38, v18, s18
	v_mad_u64_u32 v[17:18], s[4:5], v36, s10, v[17:18]
	v_sub_u32_e32 v18, v37, v38
	v_cmp_eq_u32_e64 s[4:5], 0, v18
	v_mov_b32_e32 v37, v17
	v_mov_b32_e32 v18, v10
	;; [unrolled: 1-line block ×5, first 2 shown]
	s_branch .LBB0_23
.LBB0_20:                               ;   in Loop: Header=BB0_23 Depth=4
	s_or_b64 exec, exec, s[56:57]
.LBB0_21:                               ;   in Loop: Header=BB0_23 Depth=4
	s_or_b64 exec, exec, s[54:55]
.LBB0_22:                               ;   in Loop: Header=BB0_23 Depth=4
	s_or_b64 exec, exec, s[52:53]
	v_add_co_u32_e64 v17, s[6:7], 8, v17
	v_add_u32_e32 v38, 1, v38
	v_addc_co_u32_e64 v18, s[6:7], 0, v18, s[6:7]
	v_cmp_ge_u32_e64 s[6:7], v38, v32
	s_or_b64 s[50:51], s[6:7], s[50:51]
	v_subrev_u32_e32 v36, s16, v36
	s_andn2_b64 exec, exec, s[50:51]
	s_cbranch_execz .LBB0_16
.LBB0_23:                               ;   Parent Loop BB0_4 Depth=1
                                        ;     Parent Loop BB0_14 Depth=2
                                        ;       Parent Loop BB0_18 Depth=3
                                        ; =>      This Inner Loop Header: Depth=4
	s_and_saveexec_b64 s[52:53], s[2:3]
	s_cbranch_execz .LBB0_22
; %bb.24:                               ;   in Loop: Header=BB0_23 Depth=4
	s_and_saveexec_b64 s[54:55], s[4:5]
	s_cbranch_execz .LBB0_21
; %bb.25:                               ;   in Loop: Header=BB0_23 Depth=4
	v_mul_hi_u32 v39, v36, v28
	v_mul_lo_u32 v40, v39, s19
	v_add_u32_e32 v41, 1, v39
	v_sub_u32_e32 v40, v36, v40
	v_cmp_le_u32_e64 s[6:7], s19, v40
	v_subrev_u32_e32 v42, s19, v40
	v_cndmask_b32_e64 v39, v39, v41, s[6:7]
	v_cndmask_b32_e64 v40, v40, v42, s[6:7]
	v_add_u32_e32 v41, 1, v39
	v_cmp_le_u32_e64 s[6:7], s19, v40
	v_cndmask_b32_e64 v39, v39, v41, s[6:7]
	v_mul_lo_u32 v40, v39, s19
	v_sub_u32_e32 v40, v36, v40
	v_cmp_eq_u32_e64 s[6:7], 0, v40
	s_and_saveexec_b64 s[56:57], s[6:7]
	s_cbranch_execz .LBB0_20
; %bb.26:                               ;   in Loop: Header=BB0_23 Depth=4
	v_add_co_u32_e64 v39, s[6:7], v16, v39
	v_addc_co_u32_e64 v43, s[6:7], 0, v37, s[6:7]
	v_mad_u64_u32 v[39:40], s[6:7], v39, s20, v[7:8]
	v_mad_u64_u32 v[41:42], s[6:7], s60, v39, v[14:15]
	;; [unrolled: 1-line block ×3, first 2 shown]
	v_mov_b32_e32 v40, v42
	v_mul_lo_u32 v43, s37, v41
	v_mad_u64_u32 v[39:40], s[6:7], s60, v39, v[40:41]
	v_mul_lo_u32 v42, s36, v39
	v_mad_u64_u32 v[39:40], s[6:7], s36, v41, v[17:18]
	v_add3_u32 v40, v43, v40, v42
	global_load_dwordx2 v[39:40], v[39:40], off
	s_waitcnt vmcnt(0)
	v_add_f64 v[11:12], v[11:12], v[39:40]
	s_branch .LBB0_20
.LBB0_27:
	s_endpgm
	.section	.rodata,"a",@progbits
	.p2align	6, 0x0
	.amdhsa_kernel _ZN2at6native13vol2im_kernelIddEEvlPKT_jjjjjjjjjjjjjjjjjjjPS2_
		.amdhsa_group_segment_fixed_size 0
		.amdhsa_private_segment_fixed_size 0
		.amdhsa_kernarg_size 360
		.amdhsa_user_sgpr_count 6
		.amdhsa_user_sgpr_private_segment_buffer 1
		.amdhsa_user_sgpr_dispatch_ptr 0
		.amdhsa_user_sgpr_queue_ptr 0
		.amdhsa_user_sgpr_kernarg_segment_ptr 1
		.amdhsa_user_sgpr_dispatch_id 0
		.amdhsa_user_sgpr_flat_scratch_init 0
		.amdhsa_user_sgpr_private_segment_size 0
		.amdhsa_uses_dynamic_stack 0
		.amdhsa_system_sgpr_private_segment_wavefront_offset 0
		.amdhsa_system_sgpr_workgroup_id_x 1
		.amdhsa_system_sgpr_workgroup_id_y 0
		.amdhsa_system_sgpr_workgroup_id_z 0
		.amdhsa_system_sgpr_workgroup_info 0
		.amdhsa_system_vgpr_workitem_id 0
		.amdhsa_next_free_vgpr 44
		.amdhsa_next_free_sgpr 62
		.amdhsa_reserve_vcc 1
		.amdhsa_reserve_flat_scratch 0
		.amdhsa_float_round_mode_32 0
		.amdhsa_float_round_mode_16_64 0
		.amdhsa_float_denorm_mode_32 3
		.amdhsa_float_denorm_mode_16_64 3
		.amdhsa_dx10_clamp 1
		.amdhsa_ieee_mode 1
		.amdhsa_fp16_overflow 0
		.amdhsa_exception_fp_ieee_invalid_op 0
		.amdhsa_exception_fp_denorm_src 0
		.amdhsa_exception_fp_ieee_div_zero 0
		.amdhsa_exception_fp_ieee_overflow 0
		.amdhsa_exception_fp_ieee_underflow 0
		.amdhsa_exception_fp_ieee_inexact 0
		.amdhsa_exception_int_div_zero 0
	.end_amdhsa_kernel
	.section	.text._ZN2at6native13vol2im_kernelIddEEvlPKT_jjjjjjjjjjjjjjjjjjjPS2_,"axG",@progbits,_ZN2at6native13vol2im_kernelIddEEvlPKT_jjjjjjjjjjjjjjjjjjjPS2_,comdat
.Lfunc_end0:
	.size	_ZN2at6native13vol2im_kernelIddEEvlPKT_jjjjjjjjjjjjjjjjjjjPS2_, .Lfunc_end0-_ZN2at6native13vol2im_kernelIddEEvlPKT_jjjjjjjjjjjjjjjjjjjPS2_
                                        ; -- End function
	.set _ZN2at6native13vol2im_kernelIddEEvlPKT_jjjjjjjjjjjjjjjjjjjPS2_.num_vgpr, 44
	.set _ZN2at6native13vol2im_kernelIddEEvlPKT_jjjjjjjjjjjjjjjjjjjPS2_.num_agpr, 0
	.set _ZN2at6native13vol2im_kernelIddEEvlPKT_jjjjjjjjjjjjjjjjjjjPS2_.numbered_sgpr, 62
	.set _ZN2at6native13vol2im_kernelIddEEvlPKT_jjjjjjjjjjjjjjjjjjjPS2_.num_named_barrier, 0
	.set _ZN2at6native13vol2im_kernelIddEEvlPKT_jjjjjjjjjjjjjjjjjjjPS2_.private_seg_size, 0
	.set _ZN2at6native13vol2im_kernelIddEEvlPKT_jjjjjjjjjjjjjjjjjjjPS2_.uses_vcc, 1
	.set _ZN2at6native13vol2im_kernelIddEEvlPKT_jjjjjjjjjjjjjjjjjjjPS2_.uses_flat_scratch, 0
	.set _ZN2at6native13vol2im_kernelIddEEvlPKT_jjjjjjjjjjjjjjjjjjjPS2_.has_dyn_sized_stack, 0
	.set _ZN2at6native13vol2im_kernelIddEEvlPKT_jjjjjjjjjjjjjjjjjjjPS2_.has_recursion, 0
	.set _ZN2at6native13vol2im_kernelIddEEvlPKT_jjjjjjjjjjjjjjjjjjjPS2_.has_indirect_call, 0
	.section	.AMDGPU.csdata,"",@progbits
; Kernel info:
; codeLenInByte = 2168
; TotalNumSgprs: 66
; NumVgprs: 44
; ScratchSize: 0
; MemoryBound: 0
; FloatMode: 240
; IeeeMode: 1
; LDSByteSize: 0 bytes/workgroup (compile time only)
; SGPRBlocks: 8
; VGPRBlocks: 10
; NumSGPRsForWavesPerEU: 66
; NumVGPRsForWavesPerEU: 44
; Occupancy: 5
; WaveLimiterHint : 0
; COMPUTE_PGM_RSRC2:SCRATCH_EN: 0
; COMPUTE_PGM_RSRC2:USER_SGPR: 6
; COMPUTE_PGM_RSRC2:TRAP_HANDLER: 0
; COMPUTE_PGM_RSRC2:TGID_X_EN: 1
; COMPUTE_PGM_RSRC2:TGID_Y_EN: 0
; COMPUTE_PGM_RSRC2:TGID_Z_EN: 0
; COMPUTE_PGM_RSRC2:TIDIG_COMP_CNT: 0
	.section	.text._ZN2at6native13vol2im_kernelIffEEvlPKT_jjjjjjjjjjjjjjjjjjjPS2_,"axG",@progbits,_ZN2at6native13vol2im_kernelIffEEvlPKT_jjjjjjjjjjjjjjjjjjjPS2_,comdat
	.protected	_ZN2at6native13vol2im_kernelIffEEvlPKT_jjjjjjjjjjjjjjjjjjjPS2_ ; -- Begin function _ZN2at6native13vol2im_kernelIffEEvlPKT_jjjjjjjjjjjjjjjjjjjPS2_
	.globl	_ZN2at6native13vol2im_kernelIffEEvlPKT_jjjjjjjjjjjjjjjjjjjPS2_
	.p2align	8
	.type	_ZN2at6native13vol2im_kernelIffEEvlPKT_jjjjjjjjjjjjjjjjjjjPS2_,@function
_ZN2at6native13vol2im_kernelIffEEvlPKT_jjjjjjjjjjjjjjjjjjjPS2_: ; @_ZN2at6native13vol2im_kernelIffEEvlPKT_jjjjjjjjjjjjjjjjjjjPS2_
; %bb.0:
	s_load_dword s2, s[4:5], 0x74
	s_load_dwordx4 s[24:27], s[4:5], 0x0
	s_add_u32 s0, s4, 0x68
	v_mov_b32_e32 v2, 0
	s_addc_u32 s1, s5, 0
	s_waitcnt lgkmcnt(0)
	s_and_b32 s2, s2, 0xffff
	v_mov_b32_e32 v1, v2
	v_mov_b32_e32 v3, s6
	v_mad_u64_u32 v[0:1], s[6:7], s2, v3, v[0:1]
	v_cmp_gt_i64_e32 vcc, s[24:25], v[0:1]
	s_and_saveexec_b64 s[6:7], vcc
	s_cbranch_execz .LBB1_27
; %bb.1:
	s_load_dwordx4 s[28:31], s[4:5], 0x10
	s_load_dwordx8 s[8:15], s[4:5], 0x20
	s_load_dwordx8 s[16:23], s[4:5], 0x40
	s_load_dwordx2 s[34:35], s[4:5], 0x60
	s_load_dword s3, s[0:1], 0x0
	s_waitcnt lgkmcnt(0)
	v_cvt_f32_u32_e32 v3, s30
	v_cvt_f32_u32_e32 v4, s29
	;; [unrolled: 1-line block ×3, first 2 shown]
	s_add_i32 s0, s10, -1
	v_rcp_iflag_f32_e32 v3, v3
	v_rcp_iflag_f32_e32 v4, v4
	;; [unrolled: 1-line block ×3, first 2 shown]
	s_mul_i32 s33, s19, s0
	v_mul_f32_e32 v3, 0x4f7ffffe, v3
	v_cvt_u32_f32_e32 v3, v3
	s_add_i32 s0, s9, -1
	s_mul_i32 s58, s18, s0
	s_add_i32 s0, s8, -1
	v_mul_f32_e32 v4, 0x4f7ffffe, v4
	s_mul_i32 s59, s17, s0
	s_sub_i32 s0, 0, s30
	v_cvt_u32_f32_e32 v4, v4
	v_mul_f32_e32 v5, 0x4f7ffffe, v5
	v_mul_lo_u32 v6, s0, v3
	v_cvt_u32_f32_e32 v5, v5
	s_sub_i32 s0, 0, s29
	v_mul_lo_u32 v7, s0, v4
	s_sub_i32 s0, 0, s28
	v_mul_hi_u32 v6, v3, v6
	v_mul_lo_u32 v8, s0, v5
	s_mul_i32 s31, s29, s30
	s_mul_i32 s31, s31, s28
	v_cvt_f32_u32_e32 v9, s31
	v_add_u32_e32 v17, v3, v6
	v_mul_hi_u32 v3, v4, v7
	v_mul_hi_u32 v6, v5, v8
	v_cvt_f32_u32_e32 v8, s16
	v_rcp_iflag_f32_e32 v7, v9
	v_add_u32_e32 v18, v4, v3
	v_add_u32_e32 v19, v5, v6
	v_rcp_iflag_f32_e32 v4, v8
	v_cvt_f32_u32_e32 v5, s15
	v_mul_f32_e32 v3, 0x4f7ffffe, v7
	v_cvt_u32_f32_e32 v3, v3
	v_mul_f32_e32 v4, 0x4f7ffffe, v4
	v_rcp_iflag_f32_e32 v5, v5
	v_cvt_u32_f32_e32 v4, v4
	s_sub_i32 s0, 0, s31
	v_mul_lo_u32 v6, s0, v3
	s_sub_i32 s0, 0, s16
	v_mul_f32_e32 v5, 0x4f7ffffe, v5
	v_mul_lo_u32 v7, s0, v4
	v_cvt_u32_f32_e32 v5, v5
	s_sub_i32 s0, 0, s15
	v_mul_hi_u32 v6, v3, v6
	v_mul_hi_u32 v7, v4, v7
	v_mul_lo_u32 v9, s0, v5
	v_cvt_f32_u32_e32 v8, s14
	v_add_u32_e32 v20, v3, v6
	v_add_u32_e32 v21, v4, v7
	v_mul_hi_u32 v4, v5, v9
	v_cvt_f32_u32_e32 v6, s17
	v_cvt_f32_u32_e32 v7, s19
	v_rcp_iflag_f32_e32 v3, v8
	v_add_u32_e32 v22, v5, v4
	v_rcp_iflag_f32_e32 v4, v6
	v_cvt_f32_u32_e32 v6, s18
	v_rcp_iflag_f32_e32 v7, v7
	v_mul_f32_e32 v3, 0x4f7ffffe, v3
	v_cvt_u32_f32_e32 v3, v3
	v_rcp_iflag_f32_e32 v6, v6
	v_mul_f32_e32 v4, 0x4f7ffffe, v4
	v_cvt_u32_f32_e32 v4, v4
	v_mul_f32_e32 v7, 0x4f7ffffe, v7
	v_mul_f32_e32 v6, 0x4f7ffffe, v6
	v_cvt_u32_f32_e32 v6, v6
	s_sub_i32 s0, 0, s14
	v_cvt_u32_f32_e32 v7, v7
	v_mul_lo_u32 v5, s0, v3
	s_sub_i32 s0, 0, s17
	v_mul_lo_u32 v8, s0, v4
	s_sub_i32 s0, 0, s18
	;; [unrolled: 2-line block ×3, first 2 shown]
	v_mul_lo_u32 v10, s0, v7
	v_mul_hi_u32 v5, v3, v5
	v_mul_hi_u32 v8, v4, v8
	;; [unrolled: 1-line block ×4, first 2 shown]
	s_mov_b32 s23, 0
	s_add_i32 s33, s33, 1
	s_add_i32 s58, s58, 1
	s_add_i32 s59, s59, 1
	s_mov_b32 s60, s21
	s_mul_i32 s61, s3, s2
	v_add_u32_e32 v23, v3, v5
	v_add_u32_e32 v24, v4, v8
	;; [unrolled: 1-line block ×4, first 2 shown]
	s_lshl_b64 s[36:37], s[22:23], 2
	s_mov_b64 s[38:39], 0
	s_branch .LBB1_4
.LBB1_2:                                ;   in Loop: Header=BB1_4 Depth=1
	s_or_b64 exec, exec, s[42:43]
.LBB1_3:                                ;   in Loop: Header=BB1_4 Depth=1
	s_or_b64 exec, exec, s[40:41]
	v_mov_b32_e32 v3, v0
	v_add_co_u32_e32 v0, vcc, s61, v0
	v_ashrrev_i64 v[3:4], 30, v[2:3]
	v_addc_co_u32_e32 v1, vcc, 0, v1, vcc
	v_cmp_le_i64_e32 vcc, s[24:25], v[0:1]
	v_mov_b32_e32 v5, s35
	v_add_co_u32_e64 v3, s[0:1], s34, v3
	v_addc_co_u32_e64 v4, s[0:1], v5, v4, s[0:1]
	s_or_b64 s[38:39], vcc, s[38:39]
	global_store_dword v[3:4], v6, off
	s_andn2_b64 exec, exec, s[38:39]
	s_cbranch_execz .LBB1_27
.LBB1_4:                                ; =>This Loop Header: Depth=1
                                        ;     Child Loop BB1_14 Depth 2
                                        ;       Child Loop BB1_18 Depth 3
                                        ;         Child Loop BB1_23 Depth 4
	v_mul_hi_u32 v3, v0, v17
	v_mul_lo_u32 v4, v3, s30
	v_add_u32_e32 v5, 1, v3
	v_sub_u32_e32 v4, v0, v4
	v_cmp_le_u32_e32 vcc, s30, v4
	v_cndmask_b32_e32 v3, v3, v5, vcc
	v_subrev_u32_e32 v5, s30, v4
	v_cndmask_b32_e32 v4, v4, v5, vcc
	v_add_u32_e32 v5, 1, v3
	v_cmp_le_u32_e32 vcc, s30, v4
	v_cndmask_b32_e32 v6, v3, v5, vcc
	v_mul_lo_u32 v11, v6, s30
	v_mov_b32_e32 v3, 0
	v_mov_b32_e32 v5, 0
	v_sub_u32_e32 v4, v0, v11
	v_add_u32_e32 v4, s13, v4
	v_cmp_le_u32_e32 vcc, s33, v4
	s_and_saveexec_b64 s[0:1], vcc
	s_cbranch_execz .LBB1_6
; %bb.5:                                ;   in Loop: Header=BB1_4 Depth=1
	v_subrev_u32_e32 v5, s33, v4
	v_mul_hi_u32 v7, v5, v21
	v_mul_lo_u32 v8, v7, s16
	v_add_u32_e32 v9, 1, v7
	v_sub_u32_e32 v5, v5, v8
	v_cmp_le_u32_e32 vcc, s16, v5
	v_subrev_u32_e32 v8, s16, v5
	v_cndmask_b32_e32 v7, v7, v9, vcc
	v_cndmask_b32_e32 v5, v5, v8, vcc
	v_add_u32_e32 v8, 1, v7
	v_cmp_le_u32_e32 vcc, s16, v5
	v_cndmask_b32_e32 v5, v7, v8, vcc
	v_add_u32_e32 v5, 1, v5
.LBB1_6:                                ;   in Loop: Header=BB1_4 Depth=1
	s_or_b64 exec, exec, s[0:1]
	v_mul_hi_u32 v7, v6, v18
	v_mul_lo_u32 v8, v7, s29
	v_add_u32_e32 v9, 1, v7
	v_sub_u32_e32 v8, v6, v8
	v_cmp_le_u32_e32 vcc, s29, v8
	v_cndmask_b32_e32 v7, v7, v9, vcc
	v_subrev_u32_e32 v9, s29, v8
	v_cndmask_b32_e32 v8, v8, v9, vcc
	v_add_u32_e32 v9, 1, v7
	v_cmp_le_u32_e32 vcc, s29, v8
	v_cndmask_b32_e32 v7, v7, v9, vcc
	v_mul_lo_u32 v8, v7, s29
	v_sub_u32_e32 v6, v6, v8
	v_add_u32_e32 v27, s12, v6
	v_cmp_le_u32_e32 vcc, s58, v27
	s_and_saveexec_b64 s[0:1], vcc
	s_cbranch_execz .LBB1_8
; %bb.7:                                ;   in Loop: Header=BB1_4 Depth=1
	v_subrev_u32_e32 v3, s58, v27
	v_mul_hi_u32 v6, v3, v22
	v_mul_lo_u32 v8, v6, s15
	v_add_u32_e32 v9, 1, v6
	v_sub_u32_e32 v3, v3, v8
	v_cmp_le_u32_e32 vcc, s15, v3
	v_subrev_u32_e32 v8, s15, v3
	v_cndmask_b32_e32 v6, v6, v9, vcc
	v_cndmask_b32_e32 v3, v3, v8, vcc
	v_add_u32_e32 v8, 1, v6
	v_cmp_le_u32_e32 vcc, s15, v3
	v_cndmask_b32_e32 v3, v6, v8, vcc
	v_add_u32_e32 v3, 1, v3
.LBB1_8:                                ;   in Loop: Header=BB1_4 Depth=1
	s_or_b64 exec, exec, s[0:1]
	v_mul_hi_u32 v6, v7, v19
	v_mul_lo_u32 v8, v6, s28
	v_mov_b32_e32 v6, 0
	v_sub_u32_e32 v7, v7, v8
	v_subrev_u32_e32 v8, s28, v7
	v_cmp_le_u32_e32 vcc, s28, v7
	v_cndmask_b32_e32 v7, v7, v8, vcc
	v_subrev_u32_e32 v8, s28, v7
	v_cmp_le_u32_e32 vcc, s28, v7
	v_cndmask_b32_e32 v7, v7, v8, vcc
	v_add_u32_e32 v28, s11, v7
	v_cmp_le_u32_e32 vcc, s59, v28
	v_mov_b32_e32 v7, 0
	s_and_saveexec_b64 s[0:1], vcc
	s_cbranch_execz .LBB1_10
; %bb.9:                                ;   in Loop: Header=BB1_4 Depth=1
	v_subrev_u32_e32 v7, s59, v28
	v_mul_hi_u32 v8, v7, v23
	v_mul_lo_u32 v9, v8, s14
	v_sub_u32_e32 v7, v7, v9
	v_cmp_le_u32_e32 vcc, s14, v7
	v_add_u32_e32 v9, 1, v8
	v_cndmask_b32_e32 v8, v8, v9, vcc
	v_subrev_u32_e32 v9, s14, v7
	v_cndmask_b32_e32 v7, v7, v9, vcc
	v_cmp_le_u32_e32 vcc, s14, v7
	v_add_u32_e32 v7, 1, v8
	v_cndmask_b32_e32 v7, v8, v7, vcc
	v_add_u32_e32 v7, 1, v7
.LBB1_10:                               ;   in Loop: Header=BB1_4 Depth=1
	s_or_b64 exec, exec, s[0:1]
	v_mul_hi_u32 v8, v28, v23
	v_mul_lo_u32 v9, v8, s14
	v_add_u32_e32 v10, 1, v8
	v_sub_u32_e32 v9, v28, v9
	v_cmp_le_u32_e32 vcc, s14, v9
	v_cndmask_b32_e32 v8, v8, v10, vcc
	v_subrev_u32_e32 v10, s14, v9
	v_cndmask_b32_e32 v9, v9, v10, vcc
	v_add_u32_e32 v10, 1, v8
	v_cmp_le_u32_e32 vcc, s14, v9
	v_cndmask_b32_e32 v8, v8, v10, vcc
	v_add_u32_e32 v8, 1, v8
	v_min_u32_e32 v29, s20, v8
	v_cmp_lt_u32_e32 vcc, v7, v29
	s_and_saveexec_b64 s[40:41], vcc
	s_cbranch_execz .LBB1_3
; %bb.11:                               ;   in Loop: Header=BB1_4 Depth=1
	v_mul_hi_u32 v6, v27, v22
	v_mul_hi_u32 v8, v4, v21
	s_mov_b64 s[42:43], 0
	v_mul_lo_u32 v9, v6, s15
	v_add_u32_e32 v10, 1, v6
	v_mul_lo_u32 v12, v8, s16
	v_sub_u32_e32 v9, v27, v9
	v_cmp_le_u32_e32 vcc, s15, v9
	v_cndmask_b32_e32 v6, v6, v10, vcc
	v_subrev_u32_e32 v10, s15, v9
	v_cndmask_b32_e32 v9, v9, v10, vcc
	v_add_u32_e32 v10, 1, v6
	v_cmp_le_u32_e32 vcc, s15, v9
	v_cndmask_b32_e32 v6, v6, v10, vcc
	v_add_u32_e32 v6, 1, v6
	v_sub_u32_e32 v4, v4, v12
	v_min_u32_e32 v30, s21, v6
	v_add_u32_e32 v6, 1, v8
	v_cmp_le_u32_e32 vcc, s16, v4
	v_cndmask_b32_e32 v6, v8, v6, vcc
	v_mul_hi_u32 v8, v0, v20
	v_subrev_u32_e32 v9, s16, v4
	v_cndmask_b32_e32 v4, v4, v9, vcc
	v_add_u32_e32 v9, 1, v6
	v_mul_lo_u32 v10, v8, s31
	v_cmp_le_u32_e32 vcc, s16, v4
	v_cndmask_b32_e32 v4, v6, v9, vcc
	v_add_u32_e32 v4, 1, v4
	v_min_u32_e32 v31, s22, v4
	v_sub_u32_e32 v4, v0, v10
	v_add_u32_e32 v6, 1, v8
	v_cmp_le_u32_e32 vcc, s31, v4
	v_cndmask_b32_e32 v6, v8, v6, vcc
	v_subrev_u32_e32 v8, s31, v4
	v_cndmask_b32_e32 v4, v4, v8, vcc
	v_add_u32_e32 v8, 1, v6
	v_cmp_le_u32_e32 vcc, s31, v4
	v_cndmask_b32_e32 v4, v6, v8, vcc
	v_mov_b32_e32 v6, v2
	v_lshlrev_b64 v[9:10], 2, v[5:6]
	v_mul_lo_u32 v12, s16, v5
	v_mul_lo_u32 v32, v4, s8
	v_mov_b32_e32 v6, s27
	v_add_co_u32_e64 v9, s[2:3], s26, v9
	v_addc_co_u32_e64 v10, s[2:3], v6, v10, s[2:3]
	v_add_u32_e32 v6, s13, v0
	v_sub_u32_e32 v6, v6, v12
	v_cmp_lt_u32_e32 vcc, v3, v30
	v_cmp_lt_u32_e64 s[0:1], v5, v31
	v_mov_b32_e32 v4, v2
	v_mov_b32_e32 v8, v2
	v_sub_u32_e32 v33, v6, v11
	v_mov_b32_e32 v6, 0
	s_branch .LBB1_14
.LBB1_12:                               ;   in Loop: Header=BB1_14 Depth=2
	s_or_b64 exec, exec, s[46:47]
.LBB1_13:                               ;   in Loop: Header=BB1_14 Depth=2
	s_or_b64 exec, exec, s[44:45]
	v_add_co_u32_e64 v7, s[2:3], 1, v7
	v_addc_co_u32_e64 v8, s[2:3], 0, v8, s[2:3]
	v_cmp_ge_u32_e64 s[2:3], v7, v29
	s_or_b64 s[42:43], s[2:3], s[42:43]
	s_andn2_b64 exec, exec, s[42:43]
	s_cbranch_execz .LBB1_2
.LBB1_14:                               ;   Parent Loop BB1_4 Depth=1
                                        ; =>  This Loop Header: Depth=2
                                        ;       Child Loop BB1_18 Depth 3
                                        ;         Child Loop BB1_23 Depth 4
	s_and_saveexec_b64 s[44:45], vcc
	s_cbranch_execz .LBB1_13
; %bb.15:                               ;   in Loop: Header=BB1_14 Depth=2
	v_mul_lo_u32 v11, v7, s14
	s_mov_b64 s[46:47], 0
	v_sub_u32_e32 v14, v28, v11
	v_mul_hi_u32 v11, v14, v24
	v_mul_lo_u32 v12, v11, s17
	v_add_u32_e32 v13, 1, v11
	v_sub_u32_e32 v12, v14, v12
	v_cmp_le_u32_e64 s[2:3], s17, v12
	v_cndmask_b32_e64 v11, v11, v13, s[2:3]
	v_subrev_u32_e32 v13, s17, v12
	v_cndmask_b32_e64 v12, v12, v13, s[2:3]
	v_add_u32_e32 v13, 1, v11
	v_cmp_le_u32_e64 s[2:3], s17, v12
	v_cndmask_b32_e64 v13, v11, v13, s[2:3]
	v_add_co_u32_e64 v11, s[2:3], v13, v32
	v_addc_co_u32_e64 v15, s[2:3], 0, 0, s[2:3]
	v_mad_u64_u32 v[11:12], s[2:3], v11, s9, 0
	v_mul_lo_u32 v16, v13, s17
	v_mad_u64_u32 v[12:13], s[2:3], v15, s9, v[12:13]
	v_sub_u32_e32 v13, v14, v16
	v_cmp_eq_u32_e64 s[2:3], 0, v13
	v_mov_b32_e32 v34, v12
	v_mov_b32_e32 v13, v4
	;; [unrolled: 1-line block ×3, first 2 shown]
	s_branch .LBB1_18
.LBB1_16:                               ;   in Loop: Header=BB1_18 Depth=3
	s_or_b64 exec, exec, s[50:51]
.LBB1_17:                               ;   in Loop: Header=BB1_18 Depth=3
	s_or_b64 exec, exec, s[48:49]
	v_add_co_u32_e64 v12, s[4:5], 1, v12
	v_addc_co_u32_e64 v13, s[4:5], 0, v13, s[4:5]
	v_cmp_ge_u32_e64 s[4:5], v12, v30
	s_or_b64 s[46:47], s[4:5], s[46:47]
	s_andn2_b64 exec, exec, s[46:47]
	s_cbranch_execz .LBB1_12
.LBB1_18:                               ;   Parent Loop BB1_4 Depth=1
                                        ;     Parent Loop BB1_14 Depth=2
                                        ; =>    This Loop Header: Depth=3
                                        ;         Child Loop BB1_23 Depth 4
	s_and_saveexec_b64 s[48:49], s[0:1]
	s_cbranch_execz .LBB1_17
; %bb.19:                               ;   in Loop: Header=BB1_18 Depth=3
	v_mul_lo_u32 v14, v12, s15
	s_mov_b64 s[50:51], 0
	v_sub_u32_e32 v36, v27, v14
	v_mul_hi_u32 v14, v36, v25
	v_mul_lo_u32 v15, v14, s18
	v_add_u32_e32 v16, 1, v14
	v_sub_u32_e32 v15, v36, v15
	v_cmp_le_u32_e64 s[4:5], s18, v15
	v_cndmask_b32_e64 v14, v14, v16, s[4:5]
	v_subrev_u32_e32 v16, s18, v15
	v_cndmask_b32_e64 v15, v15, v16, s[4:5]
	v_add_u32_e32 v16, 1, v14
	v_cmp_le_u32_e64 s[4:5], s18, v15
	v_cndmask_b32_e64 v16, v14, v16, s[4:5]
	v_add_co_u32_e64 v14, s[4:5], v11, v16
	v_addc_co_u32_e64 v35, s[4:5], 0, v34, s[4:5]
	v_mad_u64_u32 v[14:15], s[4:5], v14, s10, 0
	v_mul_lo_u32 v37, v16, s18
	v_mad_u64_u32 v[15:16], s[4:5], v35, s10, v[15:16]
	v_sub_u32_e32 v16, v36, v37
	v_cmp_eq_u32_e64 s[4:5], 0, v16
	v_mov_b32_e32 v36, v15
	v_mov_b32_e32 v16, v10
	;; [unrolled: 1-line block ×5, first 2 shown]
	s_branch .LBB1_23
.LBB1_20:                               ;   in Loop: Header=BB1_23 Depth=4
	s_or_b64 exec, exec, s[56:57]
.LBB1_21:                               ;   in Loop: Header=BB1_23 Depth=4
	s_or_b64 exec, exec, s[54:55]
.LBB1_22:                               ;   in Loop: Header=BB1_23 Depth=4
	s_or_b64 exec, exec, s[52:53]
	v_add_co_u32_e64 v15, s[6:7], 4, v15
	v_add_u32_e32 v37, 1, v37
	v_addc_co_u32_e64 v16, s[6:7], 0, v16, s[6:7]
	v_cmp_ge_u32_e64 s[6:7], v37, v31
	s_or_b64 s[50:51], s[6:7], s[50:51]
	v_subrev_u32_e32 v35, s16, v35
	s_andn2_b64 exec, exec, s[50:51]
	s_cbranch_execz .LBB1_16
.LBB1_23:                               ;   Parent Loop BB1_4 Depth=1
                                        ;     Parent Loop BB1_14 Depth=2
                                        ;       Parent Loop BB1_18 Depth=3
                                        ; =>      This Inner Loop Header: Depth=4
	s_and_saveexec_b64 s[52:53], s[2:3]
	s_cbranch_execz .LBB1_22
; %bb.24:                               ;   in Loop: Header=BB1_23 Depth=4
	s_and_saveexec_b64 s[54:55], s[4:5]
	s_cbranch_execz .LBB1_21
; %bb.25:                               ;   in Loop: Header=BB1_23 Depth=4
	v_mul_hi_u32 v38, v35, v26
	v_mul_lo_u32 v39, v38, s19
	v_add_u32_e32 v40, 1, v38
	v_sub_u32_e32 v39, v35, v39
	v_cmp_le_u32_e64 s[6:7], s19, v39
	v_subrev_u32_e32 v41, s19, v39
	v_cndmask_b32_e64 v38, v38, v40, s[6:7]
	v_cndmask_b32_e64 v39, v39, v41, s[6:7]
	v_add_u32_e32 v40, 1, v38
	v_cmp_le_u32_e64 s[6:7], s19, v39
	v_cndmask_b32_e64 v38, v38, v40, s[6:7]
	v_mul_lo_u32 v39, v38, s19
	v_sub_u32_e32 v39, v35, v39
	v_cmp_eq_u32_e64 s[6:7], 0, v39
	s_and_saveexec_b64 s[56:57], s[6:7]
	s_cbranch_execz .LBB1_20
; %bb.26:                               ;   in Loop: Header=BB1_23 Depth=4
	v_add_co_u32_e64 v38, s[6:7], v14, v38
	v_addc_co_u32_e64 v42, s[6:7], 0, v36, s[6:7]
	v_mad_u64_u32 v[38:39], s[6:7], v38, s20, v[7:8]
	v_mad_u64_u32 v[40:41], s[6:7], s60, v38, v[12:13]
	;; [unrolled: 1-line block ×3, first 2 shown]
	v_mov_b32_e32 v39, v41
	v_mul_lo_u32 v42, s37, v40
	v_mad_u64_u32 v[38:39], s[6:7], s60, v38, v[39:40]
	v_mul_lo_u32 v41, s36, v38
	v_mad_u64_u32 v[38:39], s[6:7], s36, v40, v[15:16]
	v_add3_u32 v39, v42, v39, v41
	global_load_dword v38, v[38:39], off
	s_waitcnt vmcnt(0)
	v_add_f32_e32 v6, v6, v38
	s_branch .LBB1_20
.LBB1_27:
	s_endpgm
	.section	.rodata,"a",@progbits
	.p2align	6, 0x0
	.amdhsa_kernel _ZN2at6native13vol2im_kernelIffEEvlPKT_jjjjjjjjjjjjjjjjjjjPS2_
		.amdhsa_group_segment_fixed_size 0
		.amdhsa_private_segment_fixed_size 0
		.amdhsa_kernarg_size 360
		.amdhsa_user_sgpr_count 6
		.amdhsa_user_sgpr_private_segment_buffer 1
		.amdhsa_user_sgpr_dispatch_ptr 0
		.amdhsa_user_sgpr_queue_ptr 0
		.amdhsa_user_sgpr_kernarg_segment_ptr 1
		.amdhsa_user_sgpr_dispatch_id 0
		.amdhsa_user_sgpr_flat_scratch_init 0
		.amdhsa_user_sgpr_private_segment_size 0
		.amdhsa_uses_dynamic_stack 0
		.amdhsa_system_sgpr_private_segment_wavefront_offset 0
		.amdhsa_system_sgpr_workgroup_id_x 1
		.amdhsa_system_sgpr_workgroup_id_y 0
		.amdhsa_system_sgpr_workgroup_id_z 0
		.amdhsa_system_sgpr_workgroup_info 0
		.amdhsa_system_vgpr_workitem_id 0
		.amdhsa_next_free_vgpr 43
		.amdhsa_next_free_sgpr 62
		.amdhsa_reserve_vcc 1
		.amdhsa_reserve_flat_scratch 0
		.amdhsa_float_round_mode_32 0
		.amdhsa_float_round_mode_16_64 0
		.amdhsa_float_denorm_mode_32 3
		.amdhsa_float_denorm_mode_16_64 3
		.amdhsa_dx10_clamp 1
		.amdhsa_ieee_mode 1
		.amdhsa_fp16_overflow 0
		.amdhsa_exception_fp_ieee_invalid_op 0
		.amdhsa_exception_fp_denorm_src 0
		.amdhsa_exception_fp_ieee_div_zero 0
		.amdhsa_exception_fp_ieee_overflow 0
		.amdhsa_exception_fp_ieee_underflow 0
		.amdhsa_exception_fp_ieee_inexact 0
		.amdhsa_exception_int_div_zero 0
	.end_amdhsa_kernel
	.section	.text._ZN2at6native13vol2im_kernelIffEEvlPKT_jjjjjjjjjjjjjjjjjjjPS2_,"axG",@progbits,_ZN2at6native13vol2im_kernelIffEEvlPKT_jjjjjjjjjjjjjjjjjjjPS2_,comdat
.Lfunc_end1:
	.size	_ZN2at6native13vol2im_kernelIffEEvlPKT_jjjjjjjjjjjjjjjjjjjPS2_, .Lfunc_end1-_ZN2at6native13vol2im_kernelIffEEvlPKT_jjjjjjjjjjjjjjjjjjjPS2_
                                        ; -- End function
	.set _ZN2at6native13vol2im_kernelIffEEvlPKT_jjjjjjjjjjjjjjjjjjjPS2_.num_vgpr, 43
	.set _ZN2at6native13vol2im_kernelIffEEvlPKT_jjjjjjjjjjjjjjjjjjjPS2_.num_agpr, 0
	.set _ZN2at6native13vol2im_kernelIffEEvlPKT_jjjjjjjjjjjjjjjjjjjPS2_.numbered_sgpr, 62
	.set _ZN2at6native13vol2im_kernelIffEEvlPKT_jjjjjjjjjjjjjjjjjjjPS2_.num_named_barrier, 0
	.set _ZN2at6native13vol2im_kernelIffEEvlPKT_jjjjjjjjjjjjjjjjjjjPS2_.private_seg_size, 0
	.set _ZN2at6native13vol2im_kernelIffEEvlPKT_jjjjjjjjjjjjjjjjjjjPS2_.uses_vcc, 1
	.set _ZN2at6native13vol2im_kernelIffEEvlPKT_jjjjjjjjjjjjjjjjjjjPS2_.uses_flat_scratch, 0
	.set _ZN2at6native13vol2im_kernelIffEEvlPKT_jjjjjjjjjjjjjjjjjjjPS2_.has_dyn_sized_stack, 0
	.set _ZN2at6native13vol2im_kernelIffEEvlPKT_jjjjjjjjjjjjjjjjjjjPS2_.has_recursion, 0
	.set _ZN2at6native13vol2im_kernelIffEEvlPKT_jjjjjjjjjjjjjjjjjjjPS2_.has_indirect_call, 0
	.section	.AMDGPU.csdata,"",@progbits
; Kernel info:
; codeLenInByte = 2164
; TotalNumSgprs: 66
; NumVgprs: 43
; ScratchSize: 0
; MemoryBound: 0
; FloatMode: 240
; IeeeMode: 1
; LDSByteSize: 0 bytes/workgroup (compile time only)
; SGPRBlocks: 8
; VGPRBlocks: 10
; NumSGPRsForWavesPerEU: 66
; NumVGPRsForWavesPerEU: 43
; Occupancy: 5
; WaveLimiterHint : 0
; COMPUTE_PGM_RSRC2:SCRATCH_EN: 0
; COMPUTE_PGM_RSRC2:USER_SGPR: 6
; COMPUTE_PGM_RSRC2:TRAP_HANDLER: 0
; COMPUTE_PGM_RSRC2:TGID_X_EN: 1
; COMPUTE_PGM_RSRC2:TGID_Y_EN: 0
; COMPUTE_PGM_RSRC2:TGID_Z_EN: 0
; COMPUTE_PGM_RSRC2:TIDIG_COMP_CNT: 0
	.section	.text._ZN2at6native13vol2im_kernelIN3c104HalfEfEEvlPKT_jjjjjjjjjjjjjjjjjjjPS4_,"axG",@progbits,_ZN2at6native13vol2im_kernelIN3c104HalfEfEEvlPKT_jjjjjjjjjjjjjjjjjjjPS4_,comdat
	.protected	_ZN2at6native13vol2im_kernelIN3c104HalfEfEEvlPKT_jjjjjjjjjjjjjjjjjjjPS4_ ; -- Begin function _ZN2at6native13vol2im_kernelIN3c104HalfEfEEvlPKT_jjjjjjjjjjjjjjjjjjjPS4_
	.globl	_ZN2at6native13vol2im_kernelIN3c104HalfEfEEvlPKT_jjjjjjjjjjjjjjjjjjjPS4_
	.p2align	8
	.type	_ZN2at6native13vol2im_kernelIN3c104HalfEfEEvlPKT_jjjjjjjjjjjjjjjjjjjPS4_,@function
_ZN2at6native13vol2im_kernelIN3c104HalfEfEEvlPKT_jjjjjjjjjjjjjjjjjjjPS4_: ; @_ZN2at6native13vol2im_kernelIN3c104HalfEfEEvlPKT_jjjjjjjjjjjjjjjjjjjPS4_
; %bb.0:
	s_load_dword s2, s[4:5], 0x74
	s_load_dwordx4 s[24:27], s[4:5], 0x0
	s_add_u32 s0, s4, 0x68
	v_mov_b32_e32 v2, 0
	s_addc_u32 s1, s5, 0
	s_waitcnt lgkmcnt(0)
	s_and_b32 s2, s2, 0xffff
	v_mov_b32_e32 v1, v2
	v_mov_b32_e32 v3, s6
	v_mad_u64_u32 v[0:1], s[6:7], s2, v3, v[0:1]
	v_cmp_gt_i64_e32 vcc, s[24:25], v[0:1]
	s_and_saveexec_b64 s[6:7], vcc
	s_cbranch_execz .LBB2_27
; %bb.1:
	s_load_dwordx4 s[28:31], s[4:5], 0x10
	s_load_dwordx8 s[8:15], s[4:5], 0x20
	s_load_dwordx8 s[16:23], s[4:5], 0x40
	s_load_dwordx2 s[34:35], s[4:5], 0x60
	s_load_dword s3, s[0:1], 0x0
	s_waitcnt lgkmcnt(0)
	v_cvt_f32_u32_e32 v3, s30
	v_cvt_f32_u32_e32 v4, s29
	;; [unrolled: 1-line block ×3, first 2 shown]
	s_add_i32 s0, s10, -1
	v_rcp_iflag_f32_e32 v3, v3
	v_rcp_iflag_f32_e32 v4, v4
	;; [unrolled: 1-line block ×3, first 2 shown]
	s_mul_i32 s33, s19, s0
	v_mul_f32_e32 v3, 0x4f7ffffe, v3
	v_cvt_u32_f32_e32 v3, v3
	s_add_i32 s0, s9, -1
	s_mul_i32 s58, s18, s0
	s_add_i32 s0, s8, -1
	v_mul_f32_e32 v4, 0x4f7ffffe, v4
	s_mul_i32 s59, s17, s0
	s_sub_i32 s0, 0, s30
	v_cvt_u32_f32_e32 v4, v4
	v_mul_f32_e32 v5, 0x4f7ffffe, v5
	v_mul_lo_u32 v6, s0, v3
	v_cvt_u32_f32_e32 v5, v5
	s_sub_i32 s0, 0, s29
	v_mul_lo_u32 v7, s0, v4
	s_sub_i32 s0, 0, s28
	v_mul_hi_u32 v6, v3, v6
	v_mul_lo_u32 v8, s0, v5
	s_mul_i32 s31, s29, s30
	s_mul_i32 s31, s31, s28
	v_cvt_f32_u32_e32 v9, s31
	v_add_u32_e32 v17, v3, v6
	v_mul_hi_u32 v3, v4, v7
	v_mul_hi_u32 v6, v5, v8
	v_cvt_f32_u32_e32 v8, s16
	v_rcp_iflag_f32_e32 v7, v9
	v_add_u32_e32 v18, v4, v3
	v_add_u32_e32 v19, v5, v6
	v_rcp_iflag_f32_e32 v4, v8
	v_cvt_f32_u32_e32 v5, s15
	v_mul_f32_e32 v3, 0x4f7ffffe, v7
	v_cvt_u32_f32_e32 v3, v3
	v_mul_f32_e32 v4, 0x4f7ffffe, v4
	v_rcp_iflag_f32_e32 v5, v5
	v_cvt_u32_f32_e32 v4, v4
	s_sub_i32 s0, 0, s31
	v_mul_lo_u32 v6, s0, v3
	s_sub_i32 s0, 0, s16
	v_mul_f32_e32 v5, 0x4f7ffffe, v5
	v_mul_lo_u32 v7, s0, v4
	v_cvt_u32_f32_e32 v5, v5
	s_sub_i32 s0, 0, s15
	v_mul_hi_u32 v6, v3, v6
	v_mul_hi_u32 v7, v4, v7
	v_mul_lo_u32 v9, s0, v5
	v_cvt_f32_u32_e32 v8, s14
	v_add_u32_e32 v20, v3, v6
	v_add_u32_e32 v21, v4, v7
	v_mul_hi_u32 v4, v5, v9
	v_cvt_f32_u32_e32 v6, s17
	v_cvt_f32_u32_e32 v7, s19
	v_rcp_iflag_f32_e32 v3, v8
	v_add_u32_e32 v22, v5, v4
	v_rcp_iflag_f32_e32 v4, v6
	v_cvt_f32_u32_e32 v6, s18
	v_rcp_iflag_f32_e32 v7, v7
	v_mul_f32_e32 v3, 0x4f7ffffe, v3
	v_cvt_u32_f32_e32 v3, v3
	v_rcp_iflag_f32_e32 v6, v6
	v_mul_f32_e32 v4, 0x4f7ffffe, v4
	v_cvt_u32_f32_e32 v4, v4
	v_mul_f32_e32 v7, 0x4f7ffffe, v7
	v_mul_f32_e32 v6, 0x4f7ffffe, v6
	v_cvt_u32_f32_e32 v6, v6
	s_sub_i32 s0, 0, s14
	v_cvt_u32_f32_e32 v7, v7
	v_mul_lo_u32 v5, s0, v3
	s_sub_i32 s0, 0, s17
	v_mul_lo_u32 v8, s0, v4
	s_sub_i32 s0, 0, s18
	;; [unrolled: 2-line block ×3, first 2 shown]
	v_mul_lo_u32 v10, s0, v7
	v_mul_hi_u32 v5, v3, v5
	v_mul_hi_u32 v8, v4, v8
	;; [unrolled: 1-line block ×4, first 2 shown]
	s_mov_b32 s23, 0
	s_add_i32 s33, s33, 1
	s_add_i32 s58, s58, 1
	;; [unrolled: 1-line block ×3, first 2 shown]
	s_mov_b32 s60, s21
	s_mul_i32 s61, s3, s2
	v_add_u32_e32 v23, v3, v5
	v_add_u32_e32 v24, v4, v8
	;; [unrolled: 1-line block ×4, first 2 shown]
	s_lshl_b64 s[36:37], s[22:23], 1
	s_mov_b64 s[38:39], 0
	s_branch .LBB2_4
.LBB2_2:                                ;   in Loop: Header=BB2_4 Depth=1
	s_or_b64 exec, exec, s[42:43]
	v_cvt_f16_f32_e32 v6, v6
.LBB2_3:                                ;   in Loop: Header=BB2_4 Depth=1
	s_or_b64 exec, exec, s[40:41]
	v_mov_b32_e32 v3, v0
	v_add_co_u32_e32 v0, vcc, s61, v0
	v_ashrrev_i64 v[3:4], 31, v[2:3]
	v_addc_co_u32_e32 v1, vcc, 0, v1, vcc
	v_cmp_le_i64_e32 vcc, s[24:25], v[0:1]
	v_mov_b32_e32 v5, s35
	v_add_co_u32_e64 v3, s[0:1], s34, v3
	v_addc_co_u32_e64 v4, s[0:1], v5, v4, s[0:1]
	s_or_b64 s[38:39], vcc, s[38:39]
	global_store_short v[3:4], v6, off
	s_andn2_b64 exec, exec, s[38:39]
	s_cbranch_execz .LBB2_27
.LBB2_4:                                ; =>This Loop Header: Depth=1
                                        ;     Child Loop BB2_14 Depth 2
                                        ;       Child Loop BB2_18 Depth 3
                                        ;         Child Loop BB2_23 Depth 4
	v_mul_hi_u32 v3, v0, v17
	v_mul_lo_u32 v4, v3, s30
	v_add_u32_e32 v5, 1, v3
	v_sub_u32_e32 v4, v0, v4
	v_cmp_le_u32_e32 vcc, s30, v4
	v_cndmask_b32_e32 v3, v3, v5, vcc
	v_subrev_u32_e32 v5, s30, v4
	v_cndmask_b32_e32 v4, v4, v5, vcc
	v_add_u32_e32 v5, 1, v3
	v_cmp_le_u32_e32 vcc, s30, v4
	v_cndmask_b32_e32 v6, v3, v5, vcc
	v_mul_lo_u32 v11, v6, s30
	v_mov_b32_e32 v3, 0
	v_mov_b32_e32 v5, 0
	v_sub_u32_e32 v4, v0, v11
	v_add_u32_e32 v4, s13, v4
	v_cmp_le_u32_e32 vcc, s33, v4
	s_and_saveexec_b64 s[0:1], vcc
	s_cbranch_execz .LBB2_6
; %bb.5:                                ;   in Loop: Header=BB2_4 Depth=1
	v_subrev_u32_e32 v5, s33, v4
	v_mul_hi_u32 v7, v5, v21
	v_mul_lo_u32 v8, v7, s16
	v_add_u32_e32 v9, 1, v7
	v_sub_u32_e32 v5, v5, v8
	v_cmp_le_u32_e32 vcc, s16, v5
	v_subrev_u32_e32 v8, s16, v5
	v_cndmask_b32_e32 v7, v7, v9, vcc
	v_cndmask_b32_e32 v5, v5, v8, vcc
	v_add_u32_e32 v8, 1, v7
	v_cmp_le_u32_e32 vcc, s16, v5
	v_cndmask_b32_e32 v5, v7, v8, vcc
	v_add_u32_e32 v5, 1, v5
.LBB2_6:                                ;   in Loop: Header=BB2_4 Depth=1
	s_or_b64 exec, exec, s[0:1]
	v_mul_hi_u32 v7, v6, v18
	v_mul_lo_u32 v8, v7, s29
	v_add_u32_e32 v9, 1, v7
	v_sub_u32_e32 v8, v6, v8
	v_cmp_le_u32_e32 vcc, s29, v8
	v_cndmask_b32_e32 v7, v7, v9, vcc
	v_subrev_u32_e32 v9, s29, v8
	v_cndmask_b32_e32 v8, v8, v9, vcc
	v_add_u32_e32 v9, 1, v7
	v_cmp_le_u32_e32 vcc, s29, v8
	v_cndmask_b32_e32 v7, v7, v9, vcc
	v_mul_lo_u32 v8, v7, s29
	v_sub_u32_e32 v6, v6, v8
	v_add_u32_e32 v27, s12, v6
	v_cmp_le_u32_e32 vcc, s58, v27
	s_and_saveexec_b64 s[0:1], vcc
	s_cbranch_execz .LBB2_8
; %bb.7:                                ;   in Loop: Header=BB2_4 Depth=1
	v_subrev_u32_e32 v3, s58, v27
	v_mul_hi_u32 v6, v3, v22
	v_mul_lo_u32 v8, v6, s15
	v_add_u32_e32 v9, 1, v6
	v_sub_u32_e32 v3, v3, v8
	v_cmp_le_u32_e32 vcc, s15, v3
	v_subrev_u32_e32 v8, s15, v3
	v_cndmask_b32_e32 v6, v6, v9, vcc
	v_cndmask_b32_e32 v3, v3, v8, vcc
	v_add_u32_e32 v8, 1, v6
	v_cmp_le_u32_e32 vcc, s15, v3
	v_cndmask_b32_e32 v3, v6, v8, vcc
	v_add_u32_e32 v3, 1, v3
.LBB2_8:                                ;   in Loop: Header=BB2_4 Depth=1
	s_or_b64 exec, exec, s[0:1]
	v_mul_hi_u32 v6, v7, v19
	v_mul_lo_u32 v8, v6, s28
	v_mov_b32_e32 v6, 0
	v_sub_u32_e32 v7, v7, v8
	v_subrev_u32_e32 v8, s28, v7
	v_cmp_le_u32_e32 vcc, s28, v7
	v_cndmask_b32_e32 v7, v7, v8, vcc
	v_subrev_u32_e32 v8, s28, v7
	v_cmp_le_u32_e32 vcc, s28, v7
	v_cndmask_b32_e32 v7, v7, v8, vcc
	v_add_u32_e32 v28, s11, v7
	v_cmp_le_u32_e32 vcc, s59, v28
	v_mov_b32_e32 v7, 0
	s_and_saveexec_b64 s[0:1], vcc
	s_cbranch_execz .LBB2_10
; %bb.9:                                ;   in Loop: Header=BB2_4 Depth=1
	v_subrev_u32_e32 v7, s59, v28
	v_mul_hi_u32 v8, v7, v23
	v_mul_lo_u32 v9, v8, s14
	v_sub_u32_e32 v7, v7, v9
	v_cmp_le_u32_e32 vcc, s14, v7
	v_add_u32_e32 v9, 1, v8
	v_cndmask_b32_e32 v8, v8, v9, vcc
	v_subrev_u32_e32 v9, s14, v7
	v_cndmask_b32_e32 v7, v7, v9, vcc
	v_cmp_le_u32_e32 vcc, s14, v7
	v_add_u32_e32 v7, 1, v8
	v_cndmask_b32_e32 v7, v8, v7, vcc
	v_add_u32_e32 v7, 1, v7
.LBB2_10:                               ;   in Loop: Header=BB2_4 Depth=1
	s_or_b64 exec, exec, s[0:1]
	v_mul_hi_u32 v8, v28, v23
	v_mul_lo_u32 v9, v8, s14
	v_add_u32_e32 v10, 1, v8
	v_sub_u32_e32 v9, v28, v9
	v_cmp_le_u32_e32 vcc, s14, v9
	v_cndmask_b32_e32 v8, v8, v10, vcc
	v_subrev_u32_e32 v10, s14, v9
	v_cndmask_b32_e32 v9, v9, v10, vcc
	v_add_u32_e32 v10, 1, v8
	v_cmp_le_u32_e32 vcc, s14, v9
	v_cndmask_b32_e32 v8, v8, v10, vcc
	v_add_u32_e32 v8, 1, v8
	v_min_u32_e32 v29, s20, v8
	v_cmp_lt_u32_e32 vcc, v7, v29
	s_and_saveexec_b64 s[40:41], vcc
	s_cbranch_execz .LBB2_3
; %bb.11:                               ;   in Loop: Header=BB2_4 Depth=1
	v_mul_hi_u32 v6, v27, v22
	v_mul_hi_u32 v8, v4, v21
	s_mov_b64 s[42:43], 0
	v_mul_lo_u32 v9, v6, s15
	v_add_u32_e32 v10, 1, v6
	v_mul_lo_u32 v12, v8, s16
	v_sub_u32_e32 v9, v27, v9
	v_cmp_le_u32_e32 vcc, s15, v9
	v_cndmask_b32_e32 v6, v6, v10, vcc
	v_subrev_u32_e32 v10, s15, v9
	v_cndmask_b32_e32 v9, v9, v10, vcc
	v_add_u32_e32 v10, 1, v6
	v_cmp_le_u32_e32 vcc, s15, v9
	v_cndmask_b32_e32 v6, v6, v10, vcc
	v_add_u32_e32 v6, 1, v6
	v_sub_u32_e32 v4, v4, v12
	v_min_u32_e32 v30, s21, v6
	v_add_u32_e32 v6, 1, v8
	v_cmp_le_u32_e32 vcc, s16, v4
	v_cndmask_b32_e32 v6, v8, v6, vcc
	v_mul_hi_u32 v8, v0, v20
	v_subrev_u32_e32 v9, s16, v4
	v_cndmask_b32_e32 v4, v4, v9, vcc
	v_add_u32_e32 v9, 1, v6
	v_mul_lo_u32 v10, v8, s31
	v_cmp_le_u32_e32 vcc, s16, v4
	v_cndmask_b32_e32 v4, v6, v9, vcc
	v_add_u32_e32 v4, 1, v4
	v_min_u32_e32 v31, s22, v4
	v_sub_u32_e32 v4, v0, v10
	v_add_u32_e32 v6, 1, v8
	v_cmp_le_u32_e32 vcc, s31, v4
	v_cndmask_b32_e32 v6, v8, v6, vcc
	v_subrev_u32_e32 v8, s31, v4
	v_cndmask_b32_e32 v4, v4, v8, vcc
	v_add_u32_e32 v8, 1, v6
	v_cmp_le_u32_e32 vcc, s31, v4
	v_cndmask_b32_e32 v4, v6, v8, vcc
	v_mov_b32_e32 v6, v2
	v_lshlrev_b64 v[9:10], 1, v[5:6]
	v_mul_lo_u32 v12, s16, v5
	v_mul_lo_u32 v32, v4, s8
	v_mov_b32_e32 v6, s27
	v_add_co_u32_e64 v9, s[2:3], s26, v9
	v_addc_co_u32_e64 v10, s[2:3], v6, v10, s[2:3]
	v_add_u32_e32 v6, s13, v0
	v_sub_u32_e32 v6, v6, v12
	v_cmp_lt_u32_e32 vcc, v3, v30
	v_cmp_lt_u32_e64 s[0:1], v5, v31
	v_mov_b32_e32 v4, v2
	v_mov_b32_e32 v8, v2
	v_sub_u32_e32 v33, v6, v11
	v_mov_b32_e32 v6, 0
	s_branch .LBB2_14
.LBB2_12:                               ;   in Loop: Header=BB2_14 Depth=2
	s_or_b64 exec, exec, s[46:47]
.LBB2_13:                               ;   in Loop: Header=BB2_14 Depth=2
	s_or_b64 exec, exec, s[44:45]
	v_add_co_u32_e64 v7, s[2:3], 1, v7
	v_addc_co_u32_e64 v8, s[2:3], 0, v8, s[2:3]
	v_cmp_ge_u32_e64 s[2:3], v7, v29
	s_or_b64 s[42:43], s[2:3], s[42:43]
	s_andn2_b64 exec, exec, s[42:43]
	s_cbranch_execz .LBB2_2
.LBB2_14:                               ;   Parent Loop BB2_4 Depth=1
                                        ; =>  This Loop Header: Depth=2
                                        ;       Child Loop BB2_18 Depth 3
                                        ;         Child Loop BB2_23 Depth 4
	s_and_saveexec_b64 s[44:45], vcc
	s_cbranch_execz .LBB2_13
; %bb.15:                               ;   in Loop: Header=BB2_14 Depth=2
	v_mul_lo_u32 v11, v7, s14
	s_mov_b64 s[46:47], 0
	v_sub_u32_e32 v14, v28, v11
	v_mul_hi_u32 v11, v14, v24
	v_mul_lo_u32 v12, v11, s17
	v_add_u32_e32 v13, 1, v11
	v_sub_u32_e32 v12, v14, v12
	v_cmp_le_u32_e64 s[2:3], s17, v12
	v_cndmask_b32_e64 v11, v11, v13, s[2:3]
	v_subrev_u32_e32 v13, s17, v12
	v_cndmask_b32_e64 v12, v12, v13, s[2:3]
	v_add_u32_e32 v13, 1, v11
	v_cmp_le_u32_e64 s[2:3], s17, v12
	v_cndmask_b32_e64 v13, v11, v13, s[2:3]
	v_add_co_u32_e64 v11, s[2:3], v13, v32
	v_addc_co_u32_e64 v15, s[2:3], 0, 0, s[2:3]
	v_mad_u64_u32 v[11:12], s[2:3], v11, s9, 0
	v_mul_lo_u32 v16, v13, s17
	v_mad_u64_u32 v[12:13], s[2:3], v15, s9, v[12:13]
	v_sub_u32_e32 v13, v14, v16
	v_cmp_eq_u32_e64 s[2:3], 0, v13
	v_mov_b32_e32 v34, v12
	v_mov_b32_e32 v13, v4
	;; [unrolled: 1-line block ×3, first 2 shown]
	s_branch .LBB2_18
.LBB2_16:                               ;   in Loop: Header=BB2_18 Depth=3
	s_or_b64 exec, exec, s[50:51]
.LBB2_17:                               ;   in Loop: Header=BB2_18 Depth=3
	s_or_b64 exec, exec, s[48:49]
	v_add_co_u32_e64 v12, s[4:5], 1, v12
	v_addc_co_u32_e64 v13, s[4:5], 0, v13, s[4:5]
	v_cmp_ge_u32_e64 s[4:5], v12, v30
	s_or_b64 s[46:47], s[4:5], s[46:47]
	s_andn2_b64 exec, exec, s[46:47]
	s_cbranch_execz .LBB2_12
.LBB2_18:                               ;   Parent Loop BB2_4 Depth=1
                                        ;     Parent Loop BB2_14 Depth=2
                                        ; =>    This Loop Header: Depth=3
                                        ;         Child Loop BB2_23 Depth 4
	s_and_saveexec_b64 s[48:49], s[0:1]
	s_cbranch_execz .LBB2_17
; %bb.19:                               ;   in Loop: Header=BB2_18 Depth=3
	v_mul_lo_u32 v14, v12, s15
	s_mov_b64 s[50:51], 0
	v_sub_u32_e32 v36, v27, v14
	v_mul_hi_u32 v14, v36, v25
	v_mul_lo_u32 v15, v14, s18
	v_add_u32_e32 v16, 1, v14
	v_sub_u32_e32 v15, v36, v15
	v_cmp_le_u32_e64 s[4:5], s18, v15
	v_cndmask_b32_e64 v14, v14, v16, s[4:5]
	v_subrev_u32_e32 v16, s18, v15
	v_cndmask_b32_e64 v15, v15, v16, s[4:5]
	v_add_u32_e32 v16, 1, v14
	v_cmp_le_u32_e64 s[4:5], s18, v15
	v_cndmask_b32_e64 v16, v14, v16, s[4:5]
	v_add_co_u32_e64 v14, s[4:5], v11, v16
	v_addc_co_u32_e64 v35, s[4:5], 0, v34, s[4:5]
	v_mad_u64_u32 v[14:15], s[4:5], v14, s10, 0
	v_mul_lo_u32 v37, v16, s18
	v_mad_u64_u32 v[15:16], s[4:5], v35, s10, v[15:16]
	v_sub_u32_e32 v16, v36, v37
	v_cmp_eq_u32_e64 s[4:5], 0, v16
	v_mov_b32_e32 v36, v15
	v_mov_b32_e32 v16, v10
	;; [unrolled: 1-line block ×5, first 2 shown]
	s_branch .LBB2_23
.LBB2_20:                               ;   in Loop: Header=BB2_23 Depth=4
	s_or_b64 exec, exec, s[56:57]
.LBB2_21:                               ;   in Loop: Header=BB2_23 Depth=4
	s_or_b64 exec, exec, s[54:55]
.LBB2_22:                               ;   in Loop: Header=BB2_23 Depth=4
	s_or_b64 exec, exec, s[52:53]
	v_add_co_u32_e64 v15, s[6:7], 2, v15
	v_add_u32_e32 v37, 1, v37
	v_addc_co_u32_e64 v16, s[6:7], 0, v16, s[6:7]
	v_cmp_ge_u32_e64 s[6:7], v37, v31
	s_or_b64 s[50:51], s[6:7], s[50:51]
	v_subrev_u32_e32 v35, s16, v35
	s_andn2_b64 exec, exec, s[50:51]
	s_cbranch_execz .LBB2_16
.LBB2_23:                               ;   Parent Loop BB2_4 Depth=1
                                        ;     Parent Loop BB2_14 Depth=2
                                        ;       Parent Loop BB2_18 Depth=3
                                        ; =>      This Inner Loop Header: Depth=4
	s_and_saveexec_b64 s[52:53], s[2:3]
	s_cbranch_execz .LBB2_22
; %bb.24:                               ;   in Loop: Header=BB2_23 Depth=4
	s_and_saveexec_b64 s[54:55], s[4:5]
	s_cbranch_execz .LBB2_21
; %bb.25:                               ;   in Loop: Header=BB2_23 Depth=4
	v_mul_hi_u32 v38, v35, v26
	v_mul_lo_u32 v39, v38, s19
	v_add_u32_e32 v40, 1, v38
	v_sub_u32_e32 v39, v35, v39
	v_cmp_le_u32_e64 s[6:7], s19, v39
	v_subrev_u32_e32 v41, s19, v39
	v_cndmask_b32_e64 v38, v38, v40, s[6:7]
	v_cndmask_b32_e64 v39, v39, v41, s[6:7]
	v_add_u32_e32 v40, 1, v38
	v_cmp_le_u32_e64 s[6:7], s19, v39
	v_cndmask_b32_e64 v38, v38, v40, s[6:7]
	v_mul_lo_u32 v39, v38, s19
	v_sub_u32_e32 v39, v35, v39
	v_cmp_eq_u32_e64 s[6:7], 0, v39
	s_and_saveexec_b64 s[56:57], s[6:7]
	s_cbranch_execz .LBB2_20
; %bb.26:                               ;   in Loop: Header=BB2_23 Depth=4
	v_add_co_u32_e64 v38, s[6:7], v14, v38
	v_addc_co_u32_e64 v42, s[6:7], 0, v36, s[6:7]
	v_mad_u64_u32 v[38:39], s[6:7], v38, s20, v[7:8]
	v_mad_u64_u32 v[40:41], s[6:7], s60, v38, v[12:13]
	;; [unrolled: 1-line block ×3, first 2 shown]
	v_mov_b32_e32 v39, v41
	v_mul_lo_u32 v42, s37, v40
	v_mad_u64_u32 v[38:39], s[6:7], s60, v38, v[39:40]
	v_mul_lo_u32 v41, s36, v38
	v_mad_u64_u32 v[38:39], s[6:7], s36, v40, v[15:16]
	v_add3_u32 v39, v42, v39, v41
	global_load_ushort v38, v[38:39], off
	s_waitcnt vmcnt(0)
	v_cvt_f32_f16_e32 v38, v38
	v_add_f32_e32 v6, v6, v38
	s_branch .LBB2_20
.LBB2_27:
	s_endpgm
	.section	.rodata,"a",@progbits
	.p2align	6, 0x0
	.amdhsa_kernel _ZN2at6native13vol2im_kernelIN3c104HalfEfEEvlPKT_jjjjjjjjjjjjjjjjjjjPS4_
		.amdhsa_group_segment_fixed_size 0
		.amdhsa_private_segment_fixed_size 0
		.amdhsa_kernarg_size 360
		.amdhsa_user_sgpr_count 6
		.amdhsa_user_sgpr_private_segment_buffer 1
		.amdhsa_user_sgpr_dispatch_ptr 0
		.amdhsa_user_sgpr_queue_ptr 0
		.amdhsa_user_sgpr_kernarg_segment_ptr 1
		.amdhsa_user_sgpr_dispatch_id 0
		.amdhsa_user_sgpr_flat_scratch_init 0
		.amdhsa_user_sgpr_private_segment_size 0
		.amdhsa_uses_dynamic_stack 0
		.amdhsa_system_sgpr_private_segment_wavefront_offset 0
		.amdhsa_system_sgpr_workgroup_id_x 1
		.amdhsa_system_sgpr_workgroup_id_y 0
		.amdhsa_system_sgpr_workgroup_id_z 0
		.amdhsa_system_sgpr_workgroup_info 0
		.amdhsa_system_vgpr_workitem_id 0
		.amdhsa_next_free_vgpr 43
		.amdhsa_next_free_sgpr 62
		.amdhsa_reserve_vcc 1
		.amdhsa_reserve_flat_scratch 0
		.amdhsa_float_round_mode_32 0
		.amdhsa_float_round_mode_16_64 0
		.amdhsa_float_denorm_mode_32 3
		.amdhsa_float_denorm_mode_16_64 3
		.amdhsa_dx10_clamp 1
		.amdhsa_ieee_mode 1
		.amdhsa_fp16_overflow 0
		.amdhsa_exception_fp_ieee_invalid_op 0
		.amdhsa_exception_fp_denorm_src 0
		.amdhsa_exception_fp_ieee_div_zero 0
		.amdhsa_exception_fp_ieee_overflow 0
		.amdhsa_exception_fp_ieee_underflow 0
		.amdhsa_exception_fp_ieee_inexact 0
		.amdhsa_exception_int_div_zero 0
	.end_amdhsa_kernel
	.section	.text._ZN2at6native13vol2im_kernelIN3c104HalfEfEEvlPKT_jjjjjjjjjjjjjjjjjjjPS4_,"axG",@progbits,_ZN2at6native13vol2im_kernelIN3c104HalfEfEEvlPKT_jjjjjjjjjjjjjjjjjjjPS4_,comdat
.Lfunc_end2:
	.size	_ZN2at6native13vol2im_kernelIN3c104HalfEfEEvlPKT_jjjjjjjjjjjjjjjjjjjPS4_, .Lfunc_end2-_ZN2at6native13vol2im_kernelIN3c104HalfEfEEvlPKT_jjjjjjjjjjjjjjjjjjjPS4_
                                        ; -- End function
	.set _ZN2at6native13vol2im_kernelIN3c104HalfEfEEvlPKT_jjjjjjjjjjjjjjjjjjjPS4_.num_vgpr, 43
	.set _ZN2at6native13vol2im_kernelIN3c104HalfEfEEvlPKT_jjjjjjjjjjjjjjjjjjjPS4_.num_agpr, 0
	.set _ZN2at6native13vol2im_kernelIN3c104HalfEfEEvlPKT_jjjjjjjjjjjjjjjjjjjPS4_.numbered_sgpr, 62
	.set _ZN2at6native13vol2im_kernelIN3c104HalfEfEEvlPKT_jjjjjjjjjjjjjjjjjjjPS4_.num_named_barrier, 0
	.set _ZN2at6native13vol2im_kernelIN3c104HalfEfEEvlPKT_jjjjjjjjjjjjjjjjjjjPS4_.private_seg_size, 0
	.set _ZN2at6native13vol2im_kernelIN3c104HalfEfEEvlPKT_jjjjjjjjjjjjjjjjjjjPS4_.uses_vcc, 1
	.set _ZN2at6native13vol2im_kernelIN3c104HalfEfEEvlPKT_jjjjjjjjjjjjjjjjjjjPS4_.uses_flat_scratch, 0
	.set _ZN2at6native13vol2im_kernelIN3c104HalfEfEEvlPKT_jjjjjjjjjjjjjjjjjjjPS4_.has_dyn_sized_stack, 0
	.set _ZN2at6native13vol2im_kernelIN3c104HalfEfEEvlPKT_jjjjjjjjjjjjjjjjjjjPS4_.has_recursion, 0
	.set _ZN2at6native13vol2im_kernelIN3c104HalfEfEEvlPKT_jjjjjjjjjjjjjjjjjjjPS4_.has_indirect_call, 0
	.section	.AMDGPU.csdata,"",@progbits
; Kernel info:
; codeLenInByte = 2172
; TotalNumSgprs: 66
; NumVgprs: 43
; ScratchSize: 0
; MemoryBound: 0
; FloatMode: 240
; IeeeMode: 1
; LDSByteSize: 0 bytes/workgroup (compile time only)
; SGPRBlocks: 8
; VGPRBlocks: 10
; NumSGPRsForWavesPerEU: 66
; NumVGPRsForWavesPerEU: 43
; Occupancy: 5
; WaveLimiterHint : 0
; COMPUTE_PGM_RSRC2:SCRATCH_EN: 0
; COMPUTE_PGM_RSRC2:USER_SGPR: 6
; COMPUTE_PGM_RSRC2:TRAP_HANDLER: 0
; COMPUTE_PGM_RSRC2:TGID_X_EN: 1
; COMPUTE_PGM_RSRC2:TGID_Y_EN: 0
; COMPUTE_PGM_RSRC2:TGID_Z_EN: 0
; COMPUTE_PGM_RSRC2:TIDIG_COMP_CNT: 0
	.section	.text._ZN2at6native13vol2im_kernelIN3c108BFloat16EfEEvlPKT_jjjjjjjjjjjjjjjjjjjPS4_,"axG",@progbits,_ZN2at6native13vol2im_kernelIN3c108BFloat16EfEEvlPKT_jjjjjjjjjjjjjjjjjjjPS4_,comdat
	.protected	_ZN2at6native13vol2im_kernelIN3c108BFloat16EfEEvlPKT_jjjjjjjjjjjjjjjjjjjPS4_ ; -- Begin function _ZN2at6native13vol2im_kernelIN3c108BFloat16EfEEvlPKT_jjjjjjjjjjjjjjjjjjjPS4_
	.globl	_ZN2at6native13vol2im_kernelIN3c108BFloat16EfEEvlPKT_jjjjjjjjjjjjjjjjjjjPS4_
	.p2align	8
	.type	_ZN2at6native13vol2im_kernelIN3c108BFloat16EfEEvlPKT_jjjjjjjjjjjjjjjjjjjPS4_,@function
_ZN2at6native13vol2im_kernelIN3c108BFloat16EfEEvlPKT_jjjjjjjjjjjjjjjjjjjPS4_: ; @_ZN2at6native13vol2im_kernelIN3c108BFloat16EfEEvlPKT_jjjjjjjjjjjjjjjjjjjPS4_
; %bb.0:
	s_load_dword s2, s[4:5], 0x74
	s_load_dwordx4 s[24:27], s[4:5], 0x0
	s_add_u32 s0, s4, 0x68
	v_mov_b32_e32 v2, 0
	s_addc_u32 s1, s5, 0
	s_waitcnt lgkmcnt(0)
	s_and_b32 s2, s2, 0xffff
	v_mov_b32_e32 v1, v2
	v_mov_b32_e32 v3, s6
	v_mad_u64_u32 v[0:1], s[6:7], s2, v3, v[0:1]
	v_cmp_gt_i64_e32 vcc, s[24:25], v[0:1]
	s_and_saveexec_b64 s[6:7], vcc
	s_cbranch_execz .LBB3_27
; %bb.1:
	s_load_dwordx4 s[28:31], s[4:5], 0x10
	s_load_dwordx8 s[8:15], s[4:5], 0x20
	s_load_dwordx8 s[16:23], s[4:5], 0x40
	s_load_dwordx2 s[34:35], s[4:5], 0x60
	s_load_dword s3, s[0:1], 0x0
	s_waitcnt lgkmcnt(0)
	v_cvt_f32_u32_e32 v3, s30
	v_cvt_f32_u32_e32 v4, s29
	;; [unrolled: 1-line block ×3, first 2 shown]
	s_add_i32 s0, s10, -1
	v_rcp_iflag_f32_e32 v3, v3
	v_rcp_iflag_f32_e32 v4, v4
	;; [unrolled: 1-line block ×3, first 2 shown]
	s_mul_i32 s33, s19, s0
	v_mul_f32_e32 v3, 0x4f7ffffe, v3
	v_cvt_u32_f32_e32 v3, v3
	s_add_i32 s0, s9, -1
	s_mul_i32 s58, s18, s0
	s_add_i32 s0, s8, -1
	v_mul_f32_e32 v4, 0x4f7ffffe, v4
	s_mul_i32 s59, s17, s0
	s_sub_i32 s0, 0, s30
	v_cvt_u32_f32_e32 v4, v4
	v_mul_f32_e32 v5, 0x4f7ffffe, v5
	v_mul_lo_u32 v6, s0, v3
	v_cvt_u32_f32_e32 v5, v5
	s_sub_i32 s0, 0, s29
	v_mul_lo_u32 v7, s0, v4
	s_sub_i32 s0, 0, s28
	v_mul_hi_u32 v6, v3, v6
	v_mul_lo_u32 v8, s0, v5
	s_mul_i32 s31, s29, s30
	s_mul_i32 s31, s31, s28
	v_cvt_f32_u32_e32 v9, s31
	v_add_u32_e32 v17, v3, v6
	v_mul_hi_u32 v3, v4, v7
	v_mul_hi_u32 v6, v5, v8
	v_cvt_f32_u32_e32 v8, s16
	v_rcp_iflag_f32_e32 v7, v9
	v_add_u32_e32 v18, v4, v3
	v_add_u32_e32 v19, v5, v6
	v_rcp_iflag_f32_e32 v4, v8
	v_cvt_f32_u32_e32 v5, s15
	v_mul_f32_e32 v3, 0x4f7ffffe, v7
	v_cvt_u32_f32_e32 v3, v3
	v_mul_f32_e32 v4, 0x4f7ffffe, v4
	v_rcp_iflag_f32_e32 v5, v5
	v_cvt_u32_f32_e32 v4, v4
	s_sub_i32 s0, 0, s31
	v_mul_lo_u32 v6, s0, v3
	s_sub_i32 s0, 0, s16
	v_mul_f32_e32 v5, 0x4f7ffffe, v5
	v_mul_lo_u32 v7, s0, v4
	v_cvt_u32_f32_e32 v5, v5
	s_sub_i32 s0, 0, s15
	v_mul_hi_u32 v6, v3, v6
	v_mul_hi_u32 v7, v4, v7
	v_mul_lo_u32 v9, s0, v5
	v_cvt_f32_u32_e32 v8, s14
	v_add_u32_e32 v20, v3, v6
	v_add_u32_e32 v21, v4, v7
	v_mul_hi_u32 v4, v5, v9
	v_cvt_f32_u32_e32 v6, s17
	v_cvt_f32_u32_e32 v7, s19
	v_rcp_iflag_f32_e32 v3, v8
	v_add_u32_e32 v22, v5, v4
	v_rcp_iflag_f32_e32 v4, v6
	v_cvt_f32_u32_e32 v6, s18
	v_rcp_iflag_f32_e32 v7, v7
	v_mul_f32_e32 v3, 0x4f7ffffe, v3
	v_cvt_u32_f32_e32 v3, v3
	v_rcp_iflag_f32_e32 v6, v6
	v_mul_f32_e32 v4, 0x4f7ffffe, v4
	v_cvt_u32_f32_e32 v4, v4
	v_mul_f32_e32 v7, 0x4f7ffffe, v7
	v_mul_f32_e32 v6, 0x4f7ffffe, v6
	v_cvt_u32_f32_e32 v6, v6
	s_sub_i32 s0, 0, s14
	v_cvt_u32_f32_e32 v7, v7
	v_mul_lo_u32 v5, s0, v3
	s_sub_i32 s0, 0, s17
	v_mul_lo_u32 v8, s0, v4
	s_sub_i32 s0, 0, s18
	v_mul_lo_u32 v9, s0, v6
	s_sub_i32 s0, 0, s19
	v_mul_lo_u32 v10, s0, v7
	v_mul_hi_u32 v5, v3, v5
	v_mul_hi_u32 v8, v4, v8
	;; [unrolled: 1-line block ×4, first 2 shown]
	s_mov_b32 s23, 0
	s_add_i32 s33, s33, 1
	s_add_i32 s58, s58, 1
	;; [unrolled: 1-line block ×3, first 2 shown]
	s_mov_b32 s60, s21
	s_mul_i32 s61, s3, s2
	v_add_u32_e32 v23, v3, v5
	v_add_u32_e32 v24, v4, v8
	;; [unrolled: 1-line block ×4, first 2 shown]
	s_lshl_b64 s[36:37], s[22:23], 1
	s_mov_b64 s[38:39], 0
	s_movk_i32 s23, 0x7fff
	v_mov_b32_e32 v27, 0x7fc0
	s_branch .LBB3_4
.LBB3_2:                                ;   in Loop: Header=BB3_4 Depth=1
	s_or_b64 exec, exec, s[42:43]
.LBB3_3:                                ;   in Loop: Header=BB3_4 Depth=1
	s_or_b64 exec, exec, s[40:41]
	v_bfe_u32 v3, v6, 16, 1
	v_add3_u32 v3, v6, v3, s23
	v_cmp_o_f32_e32 vcc, v6, v6
	v_cndmask_b32_sdwa v5, v27, v3, vcc dst_sel:DWORD dst_unused:UNUSED_PAD src0_sel:DWORD src1_sel:WORD_1
	v_mov_b32_e32 v3, v0
	v_add_co_u32_e32 v0, vcc, s61, v0
	v_ashrrev_i64 v[3:4], 31, v[2:3]
	v_addc_co_u32_e32 v1, vcc, 0, v1, vcc
	v_cmp_le_i64_e32 vcc, s[24:25], v[0:1]
	v_mov_b32_e32 v6, s35
	v_add_co_u32_e64 v3, s[0:1], s34, v3
	v_addc_co_u32_e64 v4, s[0:1], v6, v4, s[0:1]
	s_or_b64 s[38:39], vcc, s[38:39]
	global_store_short v[3:4], v5, off
	s_andn2_b64 exec, exec, s[38:39]
	s_cbranch_execz .LBB3_27
.LBB3_4:                                ; =>This Loop Header: Depth=1
                                        ;     Child Loop BB3_14 Depth 2
                                        ;       Child Loop BB3_18 Depth 3
                                        ;         Child Loop BB3_23 Depth 4
	v_mul_hi_u32 v3, v0, v17
	v_mul_lo_u32 v4, v3, s30
	v_add_u32_e32 v5, 1, v3
	v_sub_u32_e32 v4, v0, v4
	v_cmp_le_u32_e32 vcc, s30, v4
	v_cndmask_b32_e32 v3, v3, v5, vcc
	v_subrev_u32_e32 v5, s30, v4
	v_cndmask_b32_e32 v4, v4, v5, vcc
	v_add_u32_e32 v5, 1, v3
	v_cmp_le_u32_e32 vcc, s30, v4
	v_cndmask_b32_e32 v6, v3, v5, vcc
	v_mul_lo_u32 v11, v6, s30
	v_mov_b32_e32 v3, 0
	v_mov_b32_e32 v5, 0
	v_sub_u32_e32 v4, v0, v11
	v_add_u32_e32 v4, s13, v4
	v_cmp_le_u32_e32 vcc, s33, v4
	s_and_saveexec_b64 s[0:1], vcc
	s_cbranch_execz .LBB3_6
; %bb.5:                                ;   in Loop: Header=BB3_4 Depth=1
	v_subrev_u32_e32 v5, s33, v4
	v_mul_hi_u32 v7, v5, v21
	v_mul_lo_u32 v8, v7, s16
	v_add_u32_e32 v9, 1, v7
	v_sub_u32_e32 v5, v5, v8
	v_cmp_le_u32_e32 vcc, s16, v5
	v_subrev_u32_e32 v8, s16, v5
	v_cndmask_b32_e32 v7, v7, v9, vcc
	v_cndmask_b32_e32 v5, v5, v8, vcc
	v_add_u32_e32 v8, 1, v7
	v_cmp_le_u32_e32 vcc, s16, v5
	v_cndmask_b32_e32 v5, v7, v8, vcc
	v_add_u32_e32 v5, 1, v5
.LBB3_6:                                ;   in Loop: Header=BB3_4 Depth=1
	s_or_b64 exec, exec, s[0:1]
	v_mul_hi_u32 v7, v6, v18
	v_mul_lo_u32 v8, v7, s29
	v_add_u32_e32 v9, 1, v7
	v_sub_u32_e32 v8, v6, v8
	v_cmp_le_u32_e32 vcc, s29, v8
	v_cndmask_b32_e32 v7, v7, v9, vcc
	v_subrev_u32_e32 v9, s29, v8
	v_cndmask_b32_e32 v8, v8, v9, vcc
	v_add_u32_e32 v9, 1, v7
	v_cmp_le_u32_e32 vcc, s29, v8
	v_cndmask_b32_e32 v7, v7, v9, vcc
	v_mul_lo_u32 v8, v7, s29
	v_sub_u32_e32 v6, v6, v8
	v_add_u32_e32 v28, s12, v6
	v_cmp_le_u32_e32 vcc, s58, v28
	s_and_saveexec_b64 s[0:1], vcc
	s_cbranch_execz .LBB3_8
; %bb.7:                                ;   in Loop: Header=BB3_4 Depth=1
	v_subrev_u32_e32 v3, s58, v28
	v_mul_hi_u32 v6, v3, v22
	v_mul_lo_u32 v8, v6, s15
	v_add_u32_e32 v9, 1, v6
	v_sub_u32_e32 v3, v3, v8
	v_cmp_le_u32_e32 vcc, s15, v3
	v_subrev_u32_e32 v8, s15, v3
	v_cndmask_b32_e32 v6, v6, v9, vcc
	v_cndmask_b32_e32 v3, v3, v8, vcc
	v_add_u32_e32 v8, 1, v6
	v_cmp_le_u32_e32 vcc, s15, v3
	v_cndmask_b32_e32 v3, v6, v8, vcc
	v_add_u32_e32 v3, 1, v3
.LBB3_8:                                ;   in Loop: Header=BB3_4 Depth=1
	s_or_b64 exec, exec, s[0:1]
	v_mul_hi_u32 v6, v7, v19
	v_mul_lo_u32 v8, v6, s28
	v_mov_b32_e32 v6, 0
	v_sub_u32_e32 v7, v7, v8
	v_subrev_u32_e32 v8, s28, v7
	v_cmp_le_u32_e32 vcc, s28, v7
	v_cndmask_b32_e32 v7, v7, v8, vcc
	v_subrev_u32_e32 v8, s28, v7
	v_cmp_le_u32_e32 vcc, s28, v7
	v_cndmask_b32_e32 v7, v7, v8, vcc
	v_add_u32_e32 v29, s11, v7
	v_cmp_le_u32_e32 vcc, s59, v29
	v_mov_b32_e32 v7, 0
	s_and_saveexec_b64 s[0:1], vcc
	s_cbranch_execz .LBB3_10
; %bb.9:                                ;   in Loop: Header=BB3_4 Depth=1
	v_subrev_u32_e32 v7, s59, v29
	v_mul_hi_u32 v8, v7, v23
	v_mul_lo_u32 v9, v8, s14
	v_add_u32_e32 v10, 1, v8
	v_sub_u32_e32 v7, v7, v9
	v_cmp_le_u32_e32 vcc, s14, v7
	v_subrev_u32_e32 v9, s14, v7
	v_cndmask_b32_e32 v8, v8, v10, vcc
	v_cndmask_b32_e32 v7, v7, v9, vcc
	v_add_u32_e32 v9, 1, v8
	v_cmp_le_u32_e32 vcc, s14, v7
	v_cndmask_b32_e32 v7, v8, v9, vcc
	v_add_u32_e32 v7, 1, v7
.LBB3_10:                               ;   in Loop: Header=BB3_4 Depth=1
	s_or_b64 exec, exec, s[0:1]
	v_mul_hi_u32 v8, v29, v23
	v_mul_lo_u32 v9, v8, s14
	v_add_u32_e32 v10, 1, v8
	v_sub_u32_e32 v9, v29, v9
	v_cmp_le_u32_e32 vcc, s14, v9
	v_cndmask_b32_e32 v8, v8, v10, vcc
	v_subrev_u32_e32 v10, s14, v9
	v_cndmask_b32_e32 v9, v9, v10, vcc
	v_add_u32_e32 v10, 1, v8
	v_cmp_le_u32_e32 vcc, s14, v9
	v_cndmask_b32_e32 v8, v8, v10, vcc
	v_add_u32_e32 v8, 1, v8
	v_min_u32_e32 v30, s20, v8
	v_cmp_lt_u32_e32 vcc, v7, v30
	s_and_saveexec_b64 s[40:41], vcc
	s_cbranch_execz .LBB3_3
; %bb.11:                               ;   in Loop: Header=BB3_4 Depth=1
	v_mul_hi_u32 v6, v28, v22
	v_mul_hi_u32 v8, v4, v21
	s_mov_b64 s[42:43], 0
	v_mul_lo_u32 v9, v6, s15
	v_add_u32_e32 v10, 1, v6
	v_mul_lo_u32 v12, v8, s16
	v_sub_u32_e32 v9, v28, v9
	v_cmp_le_u32_e32 vcc, s15, v9
	v_cndmask_b32_e32 v6, v6, v10, vcc
	v_subrev_u32_e32 v10, s15, v9
	v_cndmask_b32_e32 v9, v9, v10, vcc
	v_add_u32_e32 v10, 1, v6
	v_cmp_le_u32_e32 vcc, s15, v9
	v_cndmask_b32_e32 v6, v6, v10, vcc
	v_add_u32_e32 v6, 1, v6
	v_sub_u32_e32 v4, v4, v12
	v_min_u32_e32 v31, s21, v6
	v_add_u32_e32 v6, 1, v8
	v_cmp_le_u32_e32 vcc, s16, v4
	v_cndmask_b32_e32 v6, v8, v6, vcc
	v_mul_hi_u32 v8, v0, v20
	v_subrev_u32_e32 v9, s16, v4
	v_cndmask_b32_e32 v4, v4, v9, vcc
	v_add_u32_e32 v9, 1, v6
	v_mul_lo_u32 v10, v8, s31
	v_cmp_le_u32_e32 vcc, s16, v4
	v_cndmask_b32_e32 v4, v6, v9, vcc
	v_add_u32_e32 v4, 1, v4
	v_min_u32_e32 v32, s22, v4
	v_sub_u32_e32 v4, v0, v10
	v_add_u32_e32 v6, 1, v8
	v_cmp_le_u32_e32 vcc, s31, v4
	v_cndmask_b32_e32 v6, v8, v6, vcc
	v_subrev_u32_e32 v8, s31, v4
	v_cndmask_b32_e32 v4, v4, v8, vcc
	v_add_u32_e32 v8, 1, v6
	v_cmp_le_u32_e32 vcc, s31, v4
	v_cndmask_b32_e32 v4, v6, v8, vcc
	v_mov_b32_e32 v6, v2
	v_lshlrev_b64 v[9:10], 1, v[5:6]
	v_mul_lo_u32 v12, s16, v5
	v_mul_lo_u32 v33, v4, s8
	v_mov_b32_e32 v6, s27
	v_add_co_u32_e64 v9, s[2:3], s26, v9
	v_addc_co_u32_e64 v10, s[2:3], v6, v10, s[2:3]
	v_add_u32_e32 v6, s13, v0
	v_sub_u32_e32 v6, v6, v12
	v_cmp_lt_u32_e32 vcc, v3, v31
	v_cmp_lt_u32_e64 s[0:1], v5, v32
	v_mov_b32_e32 v4, v2
	v_mov_b32_e32 v8, v2
	v_sub_u32_e32 v34, v6, v11
	v_mov_b32_e32 v6, 0
	s_branch .LBB3_14
.LBB3_12:                               ;   in Loop: Header=BB3_14 Depth=2
	s_or_b64 exec, exec, s[46:47]
.LBB3_13:                               ;   in Loop: Header=BB3_14 Depth=2
	s_or_b64 exec, exec, s[44:45]
	v_add_co_u32_e64 v7, s[2:3], 1, v7
	v_addc_co_u32_e64 v8, s[2:3], 0, v8, s[2:3]
	v_cmp_ge_u32_e64 s[2:3], v7, v30
	s_or_b64 s[42:43], s[2:3], s[42:43]
	s_andn2_b64 exec, exec, s[42:43]
	s_cbranch_execz .LBB3_2
.LBB3_14:                               ;   Parent Loop BB3_4 Depth=1
                                        ; =>  This Loop Header: Depth=2
                                        ;       Child Loop BB3_18 Depth 3
                                        ;         Child Loop BB3_23 Depth 4
	s_and_saveexec_b64 s[44:45], vcc
	s_cbranch_execz .LBB3_13
; %bb.15:                               ;   in Loop: Header=BB3_14 Depth=2
	v_mul_lo_u32 v11, v7, s14
	s_mov_b64 s[46:47], 0
	v_sub_u32_e32 v14, v29, v11
	v_mul_hi_u32 v11, v14, v24
	v_mul_lo_u32 v12, v11, s17
	v_add_u32_e32 v13, 1, v11
	v_sub_u32_e32 v12, v14, v12
	v_cmp_le_u32_e64 s[2:3], s17, v12
	v_cndmask_b32_e64 v11, v11, v13, s[2:3]
	v_subrev_u32_e32 v13, s17, v12
	v_cndmask_b32_e64 v12, v12, v13, s[2:3]
	v_add_u32_e32 v13, 1, v11
	v_cmp_le_u32_e64 s[2:3], s17, v12
	v_cndmask_b32_e64 v13, v11, v13, s[2:3]
	v_add_co_u32_e64 v11, s[2:3], v13, v33
	v_addc_co_u32_e64 v15, s[2:3], 0, 0, s[2:3]
	v_mad_u64_u32 v[11:12], s[2:3], v11, s9, 0
	v_mul_lo_u32 v16, v13, s17
	v_mad_u64_u32 v[12:13], s[2:3], v15, s9, v[12:13]
	v_sub_u32_e32 v13, v14, v16
	v_cmp_eq_u32_e64 s[2:3], 0, v13
	v_mov_b32_e32 v35, v12
	v_mov_b32_e32 v13, v4
	;; [unrolled: 1-line block ×3, first 2 shown]
	s_branch .LBB3_18
.LBB3_16:                               ;   in Loop: Header=BB3_18 Depth=3
	s_or_b64 exec, exec, s[50:51]
.LBB3_17:                               ;   in Loop: Header=BB3_18 Depth=3
	s_or_b64 exec, exec, s[48:49]
	v_add_co_u32_e64 v12, s[4:5], 1, v12
	v_addc_co_u32_e64 v13, s[4:5], 0, v13, s[4:5]
	v_cmp_ge_u32_e64 s[4:5], v12, v31
	s_or_b64 s[46:47], s[4:5], s[46:47]
	s_andn2_b64 exec, exec, s[46:47]
	s_cbranch_execz .LBB3_12
.LBB3_18:                               ;   Parent Loop BB3_4 Depth=1
                                        ;     Parent Loop BB3_14 Depth=2
                                        ; =>    This Loop Header: Depth=3
                                        ;         Child Loop BB3_23 Depth 4
	s_and_saveexec_b64 s[48:49], s[0:1]
	s_cbranch_execz .LBB3_17
; %bb.19:                               ;   in Loop: Header=BB3_18 Depth=3
	v_mul_lo_u32 v14, v12, s15
	s_mov_b64 s[50:51], 0
	v_sub_u32_e32 v37, v28, v14
	v_mul_hi_u32 v14, v37, v25
	v_mul_lo_u32 v15, v14, s18
	v_add_u32_e32 v16, 1, v14
	v_sub_u32_e32 v15, v37, v15
	v_cmp_le_u32_e64 s[4:5], s18, v15
	v_cndmask_b32_e64 v14, v14, v16, s[4:5]
	v_subrev_u32_e32 v16, s18, v15
	v_cndmask_b32_e64 v15, v15, v16, s[4:5]
	v_add_u32_e32 v16, 1, v14
	v_cmp_le_u32_e64 s[4:5], s18, v15
	v_cndmask_b32_e64 v16, v14, v16, s[4:5]
	v_add_co_u32_e64 v14, s[4:5], v11, v16
	v_addc_co_u32_e64 v36, s[4:5], 0, v35, s[4:5]
	v_mad_u64_u32 v[14:15], s[4:5], v14, s10, 0
	v_mul_lo_u32 v38, v16, s18
	v_mad_u64_u32 v[15:16], s[4:5], v36, s10, v[15:16]
	v_sub_u32_e32 v16, v37, v38
	v_cmp_eq_u32_e64 s[4:5], 0, v16
	v_mov_b32_e32 v37, v15
	v_mov_b32_e32 v16, v10
	;; [unrolled: 1-line block ×5, first 2 shown]
	s_branch .LBB3_23
.LBB3_20:                               ;   in Loop: Header=BB3_23 Depth=4
	s_or_b64 exec, exec, s[56:57]
.LBB3_21:                               ;   in Loop: Header=BB3_23 Depth=4
	s_or_b64 exec, exec, s[54:55]
.LBB3_22:                               ;   in Loop: Header=BB3_23 Depth=4
	s_or_b64 exec, exec, s[52:53]
	v_add_co_u32_e64 v15, s[6:7], 2, v15
	v_add_u32_e32 v38, 1, v38
	v_addc_co_u32_e64 v16, s[6:7], 0, v16, s[6:7]
	v_cmp_ge_u32_e64 s[6:7], v38, v32
	s_or_b64 s[50:51], s[6:7], s[50:51]
	v_subrev_u32_e32 v36, s16, v36
	s_andn2_b64 exec, exec, s[50:51]
	s_cbranch_execz .LBB3_16
.LBB3_23:                               ;   Parent Loop BB3_4 Depth=1
                                        ;     Parent Loop BB3_14 Depth=2
                                        ;       Parent Loop BB3_18 Depth=3
                                        ; =>      This Inner Loop Header: Depth=4
	s_and_saveexec_b64 s[52:53], s[2:3]
	s_cbranch_execz .LBB3_22
; %bb.24:                               ;   in Loop: Header=BB3_23 Depth=4
	s_and_saveexec_b64 s[54:55], s[4:5]
	s_cbranch_execz .LBB3_21
; %bb.25:                               ;   in Loop: Header=BB3_23 Depth=4
	v_mul_hi_u32 v39, v36, v26
	v_mul_lo_u32 v40, v39, s19
	v_add_u32_e32 v41, 1, v39
	v_sub_u32_e32 v40, v36, v40
	v_cmp_le_u32_e64 s[6:7], s19, v40
	v_subrev_u32_e32 v42, s19, v40
	v_cndmask_b32_e64 v39, v39, v41, s[6:7]
	v_cndmask_b32_e64 v40, v40, v42, s[6:7]
	v_add_u32_e32 v41, 1, v39
	v_cmp_le_u32_e64 s[6:7], s19, v40
	v_cndmask_b32_e64 v39, v39, v41, s[6:7]
	v_mul_lo_u32 v40, v39, s19
	v_sub_u32_e32 v40, v36, v40
	v_cmp_eq_u32_e64 s[6:7], 0, v40
	s_and_saveexec_b64 s[56:57], s[6:7]
	s_cbranch_execz .LBB3_20
; %bb.26:                               ;   in Loop: Header=BB3_23 Depth=4
	v_add_co_u32_e64 v39, s[6:7], v14, v39
	v_addc_co_u32_e64 v43, s[6:7], 0, v37, s[6:7]
	v_mad_u64_u32 v[39:40], s[6:7], v39, s20, v[7:8]
	v_mad_u64_u32 v[41:42], s[6:7], s60, v39, v[12:13]
	;; [unrolled: 1-line block ×3, first 2 shown]
	v_mov_b32_e32 v40, v42
	v_mul_lo_u32 v43, s37, v41
	v_mad_u64_u32 v[39:40], s[6:7], s60, v39, v[40:41]
	v_mul_lo_u32 v42, s36, v39
	v_mad_u64_u32 v[39:40], s[6:7], s36, v41, v[15:16]
	v_add3_u32 v40, v43, v40, v42
	global_load_ushort v39, v[39:40], off
	s_waitcnt vmcnt(0)
	v_lshlrev_b32_e32 v39, 16, v39
	v_add_f32_e32 v6, v6, v39
	s_branch .LBB3_20
.LBB3_27:
	s_endpgm
	.section	.rodata,"a",@progbits
	.p2align	6, 0x0
	.amdhsa_kernel _ZN2at6native13vol2im_kernelIN3c108BFloat16EfEEvlPKT_jjjjjjjjjjjjjjjjjjjPS4_
		.amdhsa_group_segment_fixed_size 0
		.amdhsa_private_segment_fixed_size 0
		.amdhsa_kernarg_size 360
		.amdhsa_user_sgpr_count 6
		.amdhsa_user_sgpr_private_segment_buffer 1
		.amdhsa_user_sgpr_dispatch_ptr 0
		.amdhsa_user_sgpr_queue_ptr 0
		.amdhsa_user_sgpr_kernarg_segment_ptr 1
		.amdhsa_user_sgpr_dispatch_id 0
		.amdhsa_user_sgpr_flat_scratch_init 0
		.amdhsa_user_sgpr_private_segment_size 0
		.amdhsa_uses_dynamic_stack 0
		.amdhsa_system_sgpr_private_segment_wavefront_offset 0
		.amdhsa_system_sgpr_workgroup_id_x 1
		.amdhsa_system_sgpr_workgroup_id_y 0
		.amdhsa_system_sgpr_workgroup_id_z 0
		.amdhsa_system_sgpr_workgroup_info 0
		.amdhsa_system_vgpr_workitem_id 0
		.amdhsa_next_free_vgpr 44
		.amdhsa_next_free_sgpr 62
		.amdhsa_reserve_vcc 1
		.amdhsa_reserve_flat_scratch 0
		.amdhsa_float_round_mode_32 0
		.amdhsa_float_round_mode_16_64 0
		.amdhsa_float_denorm_mode_32 3
		.amdhsa_float_denorm_mode_16_64 3
		.amdhsa_dx10_clamp 1
		.amdhsa_ieee_mode 1
		.amdhsa_fp16_overflow 0
		.amdhsa_exception_fp_ieee_invalid_op 0
		.amdhsa_exception_fp_denorm_src 0
		.amdhsa_exception_fp_ieee_div_zero 0
		.amdhsa_exception_fp_ieee_overflow 0
		.amdhsa_exception_fp_ieee_underflow 0
		.amdhsa_exception_fp_ieee_inexact 0
		.amdhsa_exception_int_div_zero 0
	.end_amdhsa_kernel
	.section	.text._ZN2at6native13vol2im_kernelIN3c108BFloat16EfEEvlPKT_jjjjjjjjjjjjjjjjjjjPS4_,"axG",@progbits,_ZN2at6native13vol2im_kernelIN3c108BFloat16EfEEvlPKT_jjjjjjjjjjjjjjjjjjjPS4_,comdat
.Lfunc_end3:
	.size	_ZN2at6native13vol2im_kernelIN3c108BFloat16EfEEvlPKT_jjjjjjjjjjjjjjjjjjjPS4_, .Lfunc_end3-_ZN2at6native13vol2im_kernelIN3c108BFloat16EfEEvlPKT_jjjjjjjjjjjjjjjjjjjPS4_
                                        ; -- End function
	.set _ZN2at6native13vol2im_kernelIN3c108BFloat16EfEEvlPKT_jjjjjjjjjjjjjjjjjjjPS4_.num_vgpr, 44
	.set _ZN2at6native13vol2im_kernelIN3c108BFloat16EfEEvlPKT_jjjjjjjjjjjjjjjjjjjPS4_.num_agpr, 0
	.set _ZN2at6native13vol2im_kernelIN3c108BFloat16EfEEvlPKT_jjjjjjjjjjjjjjjjjjjPS4_.numbered_sgpr, 62
	.set _ZN2at6native13vol2im_kernelIN3c108BFloat16EfEEvlPKT_jjjjjjjjjjjjjjjjjjjPS4_.num_named_barrier, 0
	.set _ZN2at6native13vol2im_kernelIN3c108BFloat16EfEEvlPKT_jjjjjjjjjjjjjjjjjjjPS4_.private_seg_size, 0
	.set _ZN2at6native13vol2im_kernelIN3c108BFloat16EfEEvlPKT_jjjjjjjjjjjjjjjjjjjPS4_.uses_vcc, 1
	.set _ZN2at6native13vol2im_kernelIN3c108BFloat16EfEEvlPKT_jjjjjjjjjjjjjjjjjjjPS4_.uses_flat_scratch, 0
	.set _ZN2at6native13vol2im_kernelIN3c108BFloat16EfEEvlPKT_jjjjjjjjjjjjjjjjjjjPS4_.has_dyn_sized_stack, 0
	.set _ZN2at6native13vol2im_kernelIN3c108BFloat16EfEEvlPKT_jjjjjjjjjjjjjjjjjjjPS4_.has_recursion, 0
	.set _ZN2at6native13vol2im_kernelIN3c108BFloat16EfEEvlPKT_jjjjjjjjjjjjjjjjjjjPS4_.has_indirect_call, 0
	.section	.AMDGPU.csdata,"",@progbits
; Kernel info:
; codeLenInByte = 2208
; TotalNumSgprs: 66
; NumVgprs: 44
; ScratchSize: 0
; MemoryBound: 0
; FloatMode: 240
; IeeeMode: 1
; LDSByteSize: 0 bytes/workgroup (compile time only)
; SGPRBlocks: 8
; VGPRBlocks: 10
; NumSGPRsForWavesPerEU: 66
; NumVGPRsForWavesPerEU: 44
; Occupancy: 5
; WaveLimiterHint : 0
; COMPUTE_PGM_RSRC2:SCRATCH_EN: 0
; COMPUTE_PGM_RSRC2:USER_SGPR: 6
; COMPUTE_PGM_RSRC2:TRAP_HANDLER: 0
; COMPUTE_PGM_RSRC2:TGID_X_EN: 1
; COMPUTE_PGM_RSRC2:TGID_Y_EN: 0
; COMPUTE_PGM_RSRC2:TGID_Z_EN: 0
; COMPUTE_PGM_RSRC2:TIDIG_COMP_CNT: 0
	.section	.text._ZN2at6native14vol2col_kernelIdEEvlPKT_iiiiiiiiiiiiiiiiiiPS2_,"axG",@progbits,_ZN2at6native14vol2col_kernelIdEEvlPKT_iiiiiiiiiiiiiiiiiiPS2_,comdat
	.protected	_ZN2at6native14vol2col_kernelIdEEvlPKT_iiiiiiiiiiiiiiiiiiPS2_ ; -- Begin function _ZN2at6native14vol2col_kernelIdEEvlPKT_iiiiiiiiiiiiiiiiiiPS2_
	.globl	_ZN2at6native14vol2col_kernelIdEEvlPKT_iiiiiiiiiiiiiiiiiiPS2_
	.p2align	8
	.type	_ZN2at6native14vol2col_kernelIdEEvlPKT_iiiiiiiiiiiiiiiiiiPS2_,@function
_ZN2at6native14vol2col_kernelIdEEvlPKT_iiiiiiiiiiiiiiiiiiPS2_: ; @_ZN2at6native14vol2col_kernelIdEEvlPKT_iiiiiiiiiiiiiiiiiiPS2_
; %bb.0:
	s_load_dword s0, s[4:5], 0x6c
	s_load_dwordx4 s[24:27], s[4:5], 0x0
	s_add_u32 s28, s4, 0x60
	v_mov_b32_e32 v2, 0
	s_addc_u32 s29, s5, 0
	s_waitcnt lgkmcnt(0)
	s_and_b32 s36, s0, 0xffff
	v_mov_b32_e32 v1, v2
	v_mov_b32_e32 v3, s6
	v_mad_u64_u32 v[0:1], s[0:1], s36, v3, v[0:1]
	v_cmp_gt_i64_e32 vcc, s[24:25], v[0:1]
	s_and_saveexec_b64 s[0:1], vcc
	s_cbranch_execz .LBB4_26
; %bb.1:
	s_load_dwordx16 s[8:23], s[4:5], 0x10
	s_load_dwordx4 s[0:3], s[4:5], 0x50
	s_load_dword s37, s[28:29], 0x0
	v_mov_b32_e32 v4, s26
	v_mov_b32_e32 v5, s27
	s_waitcnt lgkmcnt(0)
	s_mul_i32 s6, s12, s11
	s_mul_i32 s4, s0, s23
	s_ashr_i32 s41, s0, 31
	s_mov_b32 s42, s0
	s_ashr_i32 s0, s13, 31
	s_mul_hi_i32 s5, s12, s11
	s_mul_i32 s0, s6, s0
	s_mul_hi_u32 s7, s6, s13
	s_add_i32 s0, s7, s0
	s_mul_i32 s5, s5, s13
	s_ashr_i32 s33, s1, 31
	s_ashr_i32 s43, s23, 31
	;; [unrolled: 1-line block ×6, first 2 shown]
	s_mov_b32 s50, s15
	s_ashr_i32 s51, s19, 31
	s_mov_b32 s52, s19
	s_ashr_i32 s53, s16, 31
	s_add_i32 s54, s0, s5
	s_ashr_i32 s7, s8, 31
	s_ashr_i32 s15, s9, 31
	;; [unrolled: 1-line block ×3, first 2 shown]
	s_cmp_gt_i32 s11, 0
	s_cselect_b64 s[28:29], -1, 0
	s_cmp_gt_i32 s12, 0
	s_mul_i32 s0, s4, s1
	s_cselect_b64 s[30:31], -1, 0
	s_cmp_gt_i32 s13, 0
	s_mov_b32 s40, s1
	s_cselect_b64 s[34:35], -1, 0
	s_ashr_i32 s1, s0, 31
	s_mul_i32 s57, s20, s10
	v_mov_b32_e32 v7, s3
	s_mov_b32 s46, s14
	s_mov_b32 s48, s18
	s_mul_i32 s55, s6, s13
	s_mov_b32 s6, s8
	s_mov_b32 s14, s9
	;; [unrolled: 1-line block ×3, first 2 shown]
	s_mul_i32 s56, s37, s36
	s_lshl_b64 s[36:37], s[0:1], 3
	s_mul_i32 s57, s57, s9
	s_mul_i32 s10, s21, s10
	v_mov_b32_e32 v6, s2
	s_mov_b64 s[8:9], 0
	s_branch .LBB4_3
.LBB4_2:                                ;   in Loop: Header=BB4_3 Depth=1
	v_add_co_u32_e32 v0, vcc, s56, v0
	v_addc_co_u32_e32 v1, vcc, 0, v1, vcc
	v_cmp_le_i64_e32 vcc, s[24:25], v[0:1]
	s_or_b64 s[8:9], vcc, s[8:9]
	s_andn2_b64 exec, exec, s[8:9]
	s_cbranch_execz .LBB4_26
.LBB4_3:                                ; =>This Loop Header: Depth=1
                                        ;     Child Loop BB4_18 Depth 2
                                        ;       Child Loop BB4_21 Depth 3
                                        ;         Child Loop BB4_24 Depth 4
	v_or_b32_e32 v3, s33, v1
	v_cmp_ne_u64_e32 vcc, 0, v[2:3]
                                        ; implicit-def: $vgpr8_vgpr9
	s_and_saveexec_b64 s[0:1], vcc
	s_xor_b64 s[2:3], exec, s[0:1]
	s_cbranch_execz .LBB4_5
; %bb.4:                                ;   in Loop: Header=BB4_3 Depth=1
	s_ashr_i32 s4, s33, 31
	s_add_u32 s0, s40, s4
	s_mov_b32 s5, s4
	s_addc_u32 s1, s33, s4
	s_xor_b64 s[26:27], s[0:1], s[4:5]
	v_cvt_f32_u32_e32 v3, s26
	v_cvt_f32_u32_e32 v8, s27
	s_sub_u32 s5, 0, s26
	s_subb_u32 s38, 0, s27
	v_mac_f32_e32 v3, 0x4f800000, v8
	v_rcp_f32_e32 v3, v3
	v_mul_f32_e32 v3, 0x5f7ffffc, v3
	v_mul_f32_e32 v8, 0x2f800000, v3
	v_trunc_f32_e32 v8, v8
	v_mac_f32_e32 v3, 0xcf800000, v8
	v_cvt_u32_f32_e32 v8, v8
	v_cvt_u32_f32_e32 v3, v3
	v_readfirstlane_b32 s39, v8
	v_readfirstlane_b32 s0, v3
	s_mul_i32 s1, s5, s39
	s_mul_hi_u32 s59, s5, s0
	s_mul_i32 s58, s38, s0
	s_add_i32 s1, s59, s1
	s_add_i32 s1, s1, s58
	s_mul_i32 s60, s5, s0
	s_mul_i32 s59, s0, s1
	s_mul_hi_u32 s61, s0, s60
	s_mul_hi_u32 s58, s0, s1
	s_add_u32 s59, s61, s59
	s_addc_u32 s58, 0, s58
	s_mul_hi_u32 s62, s39, s60
	s_mul_i32 s60, s39, s60
	s_add_u32 s59, s59, s60
	s_mul_hi_u32 s61, s39, s1
	s_addc_u32 s58, s58, s62
	s_addc_u32 s59, s61, 0
	s_mul_i32 s1, s39, s1
	s_add_u32 s1, s58, s1
	s_addc_u32 s58, 0, s59
	s_add_u32 s59, s0, s1
	s_cselect_b64 s[0:1], -1, 0
	s_cmp_lg_u64 s[0:1], 0
	s_addc_u32 s39, s39, s58
	s_mul_i32 s0, s5, s39
	s_mul_hi_u32 s1, s5, s59
	s_add_i32 s0, s1, s0
	s_mul_i32 s38, s38, s59
	s_add_i32 s0, s0, s38
	s_mul_i32 s5, s5, s59
	s_mul_hi_u32 s38, s39, s5
	s_mul_i32 s58, s39, s5
	s_mul_i32 s61, s59, s0
	s_mul_hi_u32 s5, s59, s5
	s_mul_hi_u32 s60, s59, s0
	s_add_u32 s5, s5, s61
	s_addc_u32 s60, 0, s60
	s_add_u32 s5, s5, s58
	s_mul_hi_u32 s1, s39, s0
	s_addc_u32 s5, s60, s38
	s_addc_u32 s1, s1, 0
	s_mul_i32 s0, s39, s0
	s_add_u32 s0, s5, s0
	s_addc_u32 s5, 0, s1
	s_add_u32 s38, s59, s0
	s_cselect_b64 s[0:1], -1, 0
	v_ashrrev_i32_e32 v3, 31, v1
	s_cmp_lg_u64 s[0:1], 0
	v_add_co_u32_e32 v8, vcc, v0, v3
	s_addc_u32 s5, s39, s5
	v_xor_b32_e32 v12, v8, v3
	v_mad_u64_u32 v[8:9], s[0:1], v12, s5, 0
	v_mul_hi_u32 v11, v12, s38
	v_addc_co_u32_e32 v10, vcc, v1, v3, vcc
	v_xor_b32_e32 v13, v10, v3
	v_add_co_u32_e32 v14, vcc, v11, v8
	v_addc_co_u32_e32 v15, vcc, 0, v9, vcc
	v_mad_u64_u32 v[8:9], s[0:1], v13, s38, 0
	v_mad_u64_u32 v[10:11], s[0:1], v13, s5, 0
	v_add_co_u32_e32 v8, vcc, v14, v8
	v_addc_co_u32_e32 v8, vcc, v15, v9, vcc
	v_addc_co_u32_e32 v9, vcc, 0, v11, vcc
	v_add_co_u32_e32 v10, vcc, v8, v10
	v_addc_co_u32_e32 v11, vcc, 0, v9, vcc
	v_mul_lo_u32 v14, s27, v10
	v_mul_lo_u32 v15, s26, v11
	v_mad_u64_u32 v[8:9], s[0:1], s26, v10, 0
	v_xor_b32_e32 v3, s4, v3
	v_add3_u32 v9, v9, v15, v14
	v_sub_u32_e32 v14, v13, v9
	v_mov_b32_e32 v15, s27
	v_sub_co_u32_e32 v8, vcc, v12, v8
	v_subb_co_u32_e64 v12, s[0:1], v14, v15, vcc
	v_subrev_co_u32_e64 v14, s[0:1], s26, v8
	v_subbrev_co_u32_e64 v12, s[0:1], 0, v12, s[0:1]
	v_cmp_le_u32_e64 s[0:1], s27, v12
	v_cndmask_b32_e64 v15, 0, -1, s[0:1]
	v_cmp_le_u32_e64 s[0:1], s26, v14
	v_cndmask_b32_e64 v14, 0, -1, s[0:1]
	v_cmp_eq_u32_e64 s[0:1], s27, v12
	v_cndmask_b32_e64 v12, v15, v14, s[0:1]
	v_add_co_u32_e64 v14, s[0:1], 2, v10
	v_subb_co_u32_e32 v9, vcc, v13, v9, vcc
	v_addc_co_u32_e64 v15, s[0:1], 0, v11, s[0:1]
	v_cmp_le_u32_e32 vcc, s27, v9
	v_add_co_u32_e64 v16, s[0:1], 1, v10
	v_cndmask_b32_e64 v13, 0, -1, vcc
	v_cmp_le_u32_e32 vcc, s26, v8
	v_addc_co_u32_e64 v17, s[0:1], 0, v11, s[0:1]
	v_cndmask_b32_e64 v8, 0, -1, vcc
	v_cmp_eq_u32_e32 vcc, s27, v9
	v_cmp_ne_u32_e64 s[0:1], 0, v12
	v_cndmask_b32_e32 v8, v13, v8, vcc
	v_cndmask_b32_e64 v12, v17, v15, s[0:1]
	v_cmp_ne_u32_e32 vcc, 0, v8
	v_cndmask_b32_e64 v9, v16, v14, s[0:1]
	v_cndmask_b32_e32 v8, v11, v12, vcc
	v_cndmask_b32_e32 v9, v10, v9, vcc
	v_xor_b32_e32 v10, v8, v3
	v_xor_b32_e32 v8, v9, v3
	v_sub_co_u32_e32 v8, vcc, v8, v3
	v_subb_co_u32_e32 v9, vcc, v10, v3, vcc
.LBB4_5:                                ;   in Loop: Header=BB4_3 Depth=1
	s_andn2_saveexec_b64 s[0:1], s[2:3]
	s_cbranch_execz .LBB4_7
; %bb.6:                                ;   in Loop: Header=BB4_3 Depth=1
	v_cvt_f32_u32_e32 v3, s40
	s_sub_i32 s2, 0, s40
	v_rcp_iflag_f32_e32 v3, v3
	v_mul_f32_e32 v3, 0x4f7ffffe, v3
	v_cvt_u32_f32_e32 v3, v3
	v_mul_lo_u32 v8, s2, v3
	v_mul_hi_u32 v8, v3, v8
	v_add_u32_e32 v3, v3, v8
	v_mul_hi_u32 v3, v0, v3
	v_mul_lo_u32 v8, v3, s40
	v_add_u32_e32 v9, 1, v3
	v_sub_u32_e32 v8, v0, v8
	v_subrev_u32_e32 v10, s40, v8
	v_cmp_le_u32_e32 vcc, s40, v8
	v_cndmask_b32_e32 v8, v8, v10, vcc
	v_cndmask_b32_e32 v3, v3, v9, vcc
	v_add_u32_e32 v9, 1, v3
	v_cmp_le_u32_e32 vcc, s40, v8
	v_cndmask_b32_e32 v8, v3, v9, vcc
	v_mov_b32_e32 v9, v2
.LBB4_7:                                ;   in Loop: Header=BB4_3 Depth=1
	s_or_b64 exec, exec, s[0:1]
	v_or_b32_e32 v3, s41, v9
	v_cmp_ne_u64_e32 vcc, 0, v[2:3]
                                        ; implicit-def: $vgpr10_vgpr11
	s_and_saveexec_b64 s[0:1], vcc
	s_xor_b64 s[2:3], exec, s[0:1]
	s_cbranch_execz .LBB4_9
; %bb.8:                                ;   in Loop: Header=BB4_3 Depth=1
	s_ashr_i32 s4, s41, 31
	s_add_u32 s0, s42, s4
	s_mov_b32 s5, s4
	s_addc_u32 s1, s41, s4
	s_xor_b64 s[26:27], s[0:1], s[4:5]
	v_cvt_f32_u32_e32 v3, s26
	v_cvt_f32_u32_e32 v10, s27
	s_sub_u32 s5, 0, s26
	s_subb_u32 s38, 0, s27
	v_mac_f32_e32 v3, 0x4f800000, v10
	v_rcp_f32_e32 v3, v3
	v_mul_f32_e32 v3, 0x5f7ffffc, v3
	v_mul_f32_e32 v10, 0x2f800000, v3
	v_trunc_f32_e32 v10, v10
	v_mac_f32_e32 v3, 0xcf800000, v10
	v_cvt_u32_f32_e32 v10, v10
	v_cvt_u32_f32_e32 v3, v3
	v_readfirstlane_b32 s39, v10
	v_readfirstlane_b32 s0, v3
	s_mul_i32 s1, s5, s39
	s_mul_hi_u32 s59, s5, s0
	s_mul_i32 s58, s38, s0
	s_add_i32 s1, s59, s1
	s_add_i32 s1, s1, s58
	s_mul_i32 s60, s5, s0
	s_mul_i32 s59, s0, s1
	s_mul_hi_u32 s61, s0, s60
	s_mul_hi_u32 s58, s0, s1
	s_add_u32 s59, s61, s59
	s_addc_u32 s58, 0, s58
	s_mul_hi_u32 s62, s39, s60
	s_mul_i32 s60, s39, s60
	s_add_u32 s59, s59, s60
	s_mul_hi_u32 s61, s39, s1
	s_addc_u32 s58, s58, s62
	s_addc_u32 s59, s61, 0
	s_mul_i32 s1, s39, s1
	s_add_u32 s1, s58, s1
	s_addc_u32 s58, 0, s59
	s_add_u32 s59, s0, s1
	s_cselect_b64 s[0:1], -1, 0
	s_cmp_lg_u64 s[0:1], 0
	s_addc_u32 s39, s39, s58
	s_mul_i32 s0, s5, s39
	s_mul_hi_u32 s1, s5, s59
	s_add_i32 s0, s1, s0
	s_mul_i32 s38, s38, s59
	s_add_i32 s0, s0, s38
	s_mul_i32 s5, s5, s59
	s_mul_hi_u32 s38, s39, s5
	s_mul_i32 s58, s39, s5
	s_mul_i32 s61, s59, s0
	s_mul_hi_u32 s5, s59, s5
	s_mul_hi_u32 s60, s59, s0
	s_add_u32 s5, s5, s61
	s_addc_u32 s60, 0, s60
	s_add_u32 s5, s5, s58
	s_mul_hi_u32 s1, s39, s0
	s_addc_u32 s5, s60, s38
	s_addc_u32 s1, s1, 0
	s_mul_i32 s0, s39, s0
	s_add_u32 s0, s5, s0
	s_addc_u32 s5, 0, s1
	s_add_u32 s38, s59, s0
	s_cselect_b64 s[0:1], -1, 0
	v_ashrrev_i32_e32 v3, 31, v9
	s_cmp_lg_u64 s[0:1], 0
	v_add_co_u32_e32 v10, vcc, v8, v3
	s_addc_u32 s5, s39, s5
	v_xor_b32_e32 v14, v10, v3
	v_mad_u64_u32 v[10:11], s[0:1], v14, s5, 0
	v_mul_hi_u32 v13, v14, s38
	v_addc_co_u32_e32 v12, vcc, v9, v3, vcc
	v_xor_b32_e32 v15, v12, v3
	v_add_co_u32_e32 v16, vcc, v13, v10
	v_addc_co_u32_e32 v17, vcc, 0, v11, vcc
	v_mad_u64_u32 v[10:11], s[0:1], v15, s38, 0
	v_mad_u64_u32 v[12:13], s[0:1], v15, s5, 0
	v_add_co_u32_e32 v10, vcc, v16, v10
	v_addc_co_u32_e32 v10, vcc, v17, v11, vcc
	v_addc_co_u32_e32 v11, vcc, 0, v13, vcc
	v_add_co_u32_e32 v12, vcc, v10, v12
	v_addc_co_u32_e32 v13, vcc, 0, v11, vcc
	v_mul_lo_u32 v16, s27, v12
	v_mul_lo_u32 v17, s26, v13
	v_mad_u64_u32 v[10:11], s[0:1], s26, v12, 0
	v_xor_b32_e32 v3, s4, v3
	v_add3_u32 v11, v11, v17, v16
	v_sub_u32_e32 v16, v15, v11
	v_mov_b32_e32 v17, s27
	v_sub_co_u32_e32 v10, vcc, v14, v10
	v_subb_co_u32_e64 v14, s[0:1], v16, v17, vcc
	v_subrev_co_u32_e64 v16, s[0:1], s26, v10
	v_subbrev_co_u32_e64 v14, s[0:1], 0, v14, s[0:1]
	v_cmp_le_u32_e64 s[0:1], s27, v14
	v_cndmask_b32_e64 v17, 0, -1, s[0:1]
	v_cmp_le_u32_e64 s[0:1], s26, v16
	v_cndmask_b32_e64 v16, 0, -1, s[0:1]
	v_cmp_eq_u32_e64 s[0:1], s27, v14
	v_cndmask_b32_e64 v14, v17, v16, s[0:1]
	v_add_co_u32_e64 v16, s[0:1], 2, v12
	v_subb_co_u32_e32 v11, vcc, v15, v11, vcc
	v_addc_co_u32_e64 v17, s[0:1], 0, v13, s[0:1]
	v_cmp_le_u32_e32 vcc, s27, v11
	v_add_co_u32_e64 v18, s[0:1], 1, v12
	v_cndmask_b32_e64 v15, 0, -1, vcc
	v_cmp_le_u32_e32 vcc, s26, v10
	v_addc_co_u32_e64 v19, s[0:1], 0, v13, s[0:1]
	v_cndmask_b32_e64 v10, 0, -1, vcc
	v_cmp_eq_u32_e32 vcc, s27, v11
	v_cmp_ne_u32_e64 s[0:1], 0, v14
	v_cndmask_b32_e32 v10, v15, v10, vcc
	v_cndmask_b32_e64 v14, v19, v17, s[0:1]
	v_cmp_ne_u32_e32 vcc, 0, v10
	v_cndmask_b32_e64 v11, v18, v16, s[0:1]
	v_cndmask_b32_e32 v10, v13, v14, vcc
	v_cndmask_b32_e32 v11, v12, v11, vcc
	v_xor_b32_e32 v12, v10, v3
	v_xor_b32_e32 v10, v11, v3
	v_sub_co_u32_e32 v10, vcc, v10, v3
	v_subb_co_u32_e32 v11, vcc, v12, v3, vcc
.LBB4_9:                                ;   in Loop: Header=BB4_3 Depth=1
	s_andn2_saveexec_b64 s[0:1], s[2:3]
	s_cbranch_execz .LBB4_11
; %bb.10:                               ;   in Loop: Header=BB4_3 Depth=1
	v_cvt_f32_u32_e32 v3, s42
	s_sub_i32 s2, 0, s42
	v_rcp_iflag_f32_e32 v3, v3
	v_mul_f32_e32 v3, 0x4f7ffffe, v3
	v_cvt_u32_f32_e32 v3, v3
	v_mul_lo_u32 v10, s2, v3
	v_mul_hi_u32 v10, v3, v10
	v_add_u32_e32 v3, v3, v10
	v_mul_hi_u32 v3, v8, v3
	v_mul_lo_u32 v10, v3, s42
	v_add_u32_e32 v11, 1, v3
	v_sub_u32_e32 v10, v8, v10
	v_subrev_u32_e32 v12, s42, v10
	v_cmp_le_u32_e32 vcc, s42, v10
	v_cndmask_b32_e32 v10, v10, v12, vcc
	v_cndmask_b32_e32 v3, v3, v11, vcc
	v_add_u32_e32 v11, 1, v3
	v_cmp_le_u32_e32 vcc, s42, v10
	v_cndmask_b32_e32 v10, v3, v11, vcc
	v_mov_b32_e32 v11, v2
.LBB4_11:                               ;   in Loop: Header=BB4_3 Depth=1
	s_or_b64 exec, exec, s[0:1]
	v_or_b32_e32 v3, s43, v11
	v_cmp_ne_u64_e32 vcc, 0, v[2:3]
                                        ; implicit-def: $vgpr12_vgpr13
	s_and_saveexec_b64 s[0:1], vcc
	s_xor_b64 s[2:3], exec, s[0:1]
	s_cbranch_execz .LBB4_13
; %bb.12:                               ;   in Loop: Header=BB4_3 Depth=1
	s_ashr_i32 s4, s43, 31
	s_add_u32 s0, s23, s4
	s_mov_b32 s5, s4
	s_addc_u32 s1, s43, s4
	s_xor_b64 s[26:27], s[0:1], s[4:5]
	v_cvt_f32_u32_e32 v3, s26
	v_cvt_f32_u32_e32 v12, s27
	s_sub_u32 s5, 0, s26
	s_subb_u32 s38, 0, s27
	v_mac_f32_e32 v3, 0x4f800000, v12
	v_rcp_f32_e32 v3, v3
	v_mul_f32_e32 v3, 0x5f7ffffc, v3
	v_mul_f32_e32 v12, 0x2f800000, v3
	v_trunc_f32_e32 v12, v12
	v_mac_f32_e32 v3, 0xcf800000, v12
	v_cvt_u32_f32_e32 v12, v12
	v_cvt_u32_f32_e32 v3, v3
	v_readfirstlane_b32 s39, v12
	v_readfirstlane_b32 s0, v3
	s_mul_i32 s1, s5, s39
	s_mul_hi_u32 s59, s5, s0
	s_mul_i32 s58, s38, s0
	s_add_i32 s1, s59, s1
	s_add_i32 s1, s1, s58
	s_mul_i32 s60, s5, s0
	s_mul_i32 s59, s0, s1
	s_mul_hi_u32 s61, s0, s60
	s_mul_hi_u32 s58, s0, s1
	s_add_u32 s59, s61, s59
	s_addc_u32 s58, 0, s58
	s_mul_hi_u32 s62, s39, s60
	s_mul_i32 s60, s39, s60
	s_add_u32 s59, s59, s60
	s_mul_hi_u32 s61, s39, s1
	s_addc_u32 s58, s58, s62
	s_addc_u32 s59, s61, 0
	s_mul_i32 s1, s39, s1
	s_add_u32 s1, s58, s1
	s_addc_u32 s58, 0, s59
	s_add_u32 s59, s0, s1
	s_cselect_b64 s[0:1], -1, 0
	s_cmp_lg_u64 s[0:1], 0
	s_addc_u32 s39, s39, s58
	s_mul_i32 s0, s5, s39
	s_mul_hi_u32 s1, s5, s59
	s_add_i32 s0, s1, s0
	s_mul_i32 s38, s38, s59
	s_add_i32 s0, s0, s38
	s_mul_i32 s5, s5, s59
	s_mul_hi_u32 s38, s39, s5
	s_mul_i32 s58, s39, s5
	s_mul_i32 s61, s59, s0
	s_mul_hi_u32 s5, s59, s5
	s_mul_hi_u32 s60, s59, s0
	s_add_u32 s5, s5, s61
	s_addc_u32 s60, 0, s60
	s_add_u32 s5, s5, s58
	s_mul_hi_u32 s1, s39, s0
	s_addc_u32 s5, s60, s38
	s_addc_u32 s1, s1, 0
	s_mul_i32 s0, s39, s0
	s_add_u32 s0, s5, s0
	s_addc_u32 s5, 0, s1
	s_add_u32 s38, s59, s0
	s_cselect_b64 s[0:1], -1, 0
	v_ashrrev_i32_e32 v3, 31, v11
	s_cmp_lg_u64 s[0:1], 0
	v_add_co_u32_e32 v12, vcc, v10, v3
	s_addc_u32 s5, s39, s5
	v_xor_b32_e32 v16, v12, v3
	v_mad_u64_u32 v[12:13], s[0:1], v16, s5, 0
	v_mul_hi_u32 v15, v16, s38
	v_addc_co_u32_e32 v14, vcc, v11, v3, vcc
	v_xor_b32_e32 v17, v14, v3
	v_add_co_u32_e32 v18, vcc, v15, v12
	v_addc_co_u32_e32 v19, vcc, 0, v13, vcc
	v_mad_u64_u32 v[12:13], s[0:1], v17, s38, 0
	v_mad_u64_u32 v[14:15], s[0:1], v17, s5, 0
	v_add_co_u32_e32 v12, vcc, v18, v12
	v_addc_co_u32_e32 v12, vcc, v19, v13, vcc
	v_addc_co_u32_e32 v13, vcc, 0, v15, vcc
	v_add_co_u32_e32 v14, vcc, v12, v14
	v_addc_co_u32_e32 v15, vcc, 0, v13, vcc
	v_mul_lo_u32 v18, s27, v14
	v_mul_lo_u32 v19, s26, v15
	v_mad_u64_u32 v[12:13], s[0:1], s26, v14, 0
	v_xor_b32_e32 v3, s4, v3
	v_add3_u32 v13, v13, v19, v18
	v_sub_u32_e32 v18, v17, v13
	v_mov_b32_e32 v19, s27
	v_sub_co_u32_e32 v12, vcc, v16, v12
	v_subb_co_u32_e64 v16, s[0:1], v18, v19, vcc
	v_subrev_co_u32_e64 v18, s[0:1], s26, v12
	v_subbrev_co_u32_e64 v16, s[0:1], 0, v16, s[0:1]
	v_cmp_le_u32_e64 s[0:1], s27, v16
	v_cndmask_b32_e64 v19, 0, -1, s[0:1]
	v_cmp_le_u32_e64 s[0:1], s26, v18
	v_cndmask_b32_e64 v18, 0, -1, s[0:1]
	v_cmp_eq_u32_e64 s[0:1], s27, v16
	v_cndmask_b32_e64 v16, v19, v18, s[0:1]
	v_add_co_u32_e64 v18, s[0:1], 2, v14
	v_subb_co_u32_e32 v13, vcc, v17, v13, vcc
	v_addc_co_u32_e64 v19, s[0:1], 0, v15, s[0:1]
	v_cmp_le_u32_e32 vcc, s27, v13
	v_add_co_u32_e64 v20, s[0:1], 1, v14
	v_cndmask_b32_e64 v17, 0, -1, vcc
	v_cmp_le_u32_e32 vcc, s26, v12
	v_addc_co_u32_e64 v21, s[0:1], 0, v15, s[0:1]
	v_cndmask_b32_e64 v12, 0, -1, vcc
	v_cmp_eq_u32_e32 vcc, s27, v13
	v_cmp_ne_u32_e64 s[0:1], 0, v16
	v_cndmask_b32_e32 v12, v17, v12, vcc
	v_cndmask_b32_e64 v16, v21, v19, s[0:1]
	v_cmp_ne_u32_e32 vcc, 0, v12
	v_cndmask_b32_e64 v13, v20, v18, s[0:1]
	v_cndmask_b32_e32 v12, v15, v16, vcc
	v_cndmask_b32_e32 v13, v14, v13, vcc
	v_xor_b32_e32 v14, v12, v3
	v_xor_b32_e32 v12, v13, v3
	v_sub_co_u32_e32 v12, vcc, v12, v3
	v_subb_co_u32_e32 v13, vcc, v14, v3, vcc
.LBB4_13:                               ;   in Loop: Header=BB4_3 Depth=1
	s_andn2_saveexec_b64 s[0:1], s[2:3]
	s_cbranch_execz .LBB4_15
; %bb.14:                               ;   in Loop: Header=BB4_3 Depth=1
	v_cvt_f32_u32_e32 v3, s23
	s_sub_i32 s2, 0, s23
	v_rcp_iflag_f32_e32 v3, v3
	v_mul_f32_e32 v3, 0x4f7ffffe, v3
	v_cvt_u32_f32_e32 v3, v3
	v_mul_lo_u32 v12, s2, v3
	v_mul_hi_u32 v12, v3, v12
	v_add_u32_e32 v3, v3, v12
	v_mul_hi_u32 v3, v10, v3
	v_mul_lo_u32 v12, v3, s23
	v_add_u32_e32 v13, 1, v3
	v_sub_u32_e32 v12, v10, v12
	v_subrev_u32_e32 v14, s23, v12
	v_cmp_le_u32_e32 vcc, s23, v12
	v_cndmask_b32_e32 v12, v12, v14, vcc
	v_cndmask_b32_e32 v3, v3, v13, vcc
	v_add_u32_e32 v13, 1, v3
	v_cmp_le_u32_e32 vcc, s23, v12
	v_cndmask_b32_e32 v12, v3, v13, vcc
	v_mov_b32_e32 v13, v2
.LBB4_15:                               ;   in Loop: Header=BB4_3 Depth=1
	s_or_b64 exec, exec, s[0:1]
	v_mul_lo_u32 v3, v11, s42
	v_mul_lo_u32 v16, v10, s41
	v_mad_u64_u32 v[14:15], s[0:1], v10, s42, 0
	v_mul_lo_u32 v19, v9, s40
	v_mul_lo_u32 v20, v8, s33
	v_add3_u32 v3, v15, v16, v3
	v_mad_u64_u32 v[15:16], s[0:1], v8, s40, 0
	v_sub_co_u32_e32 v17, vcc, v8, v14
	v_subb_co_u32_e32 v18, vcc, v9, v3, vcc
	v_add3_u32 v3, v16, v20, v19
	v_mul_lo_u32 v16, v13, s23
	v_mul_lo_u32 v19, v12, s43
	v_mad_u64_u32 v[8:9], s[0:1], v12, s23, 0
	v_sub_co_u32_e32 v14, vcc, v0, v15
	v_subb_co_u32_e32 v15, vcc, v1, v3, vcc
	v_add3_u32 v3, v9, v19, v16
	v_sub_co_u32_e32 v9, vcc, v10, v8
	v_subb_co_u32_e32 v10, vcc, v11, v3, vcc
	v_mul_lo_u32 v11, v10, s17
	v_mul_lo_u32 v16, v9, s44
	v_mad_u64_u32 v[19:20], s[0:1], v9, s17, 0
	v_mul_lo_u32 v3, v3, s55
	v_mul_lo_u32 v21, v17, s47
	v_add3_u32 v16, v20, v16, v11
	v_mad_u64_u32 v[10:11], s[0:1], v8, s55, v[9:10]
	v_mul_lo_u32 v20, v8, s54
	v_mov_b32_e32 v9, s45
	v_subrev_co_u32_e32 v8, vcc, s46, v19
	v_add3_u32 v3, v3, v11, v20
	v_mul_lo_u32 v20, v10, s41
	v_mad_u64_u32 v[10:11], s[0:1], v10, s42, v[17:18]
	v_mul_lo_u32 v3, v3, s42
	v_subb_co_u32_e32 v9, vcc, v16, v9, vcc
	v_mul_lo_u32 v19, v18, s48
	v_mad_u64_u32 v[16:17], s[0:1], v17, s48, 0
	v_add3_u32 v3, v3, v11, v20
	v_mul_lo_u32 v3, v3, s40
	v_add3_u32 v19, v17, v21, v19
	v_mul_lo_u32 v20, v10, s33
	v_mad_u64_u32 v[17:18], s[0:1], v10, s40, 0
	v_mov_b32_e32 v21, s49
	v_subrev_co_u32_e32 v10, vcc, s50, v16
	v_add3_u32 v18, v18, v20, v3
	v_lshlrev_b64 v[16:17], 3, v[17:18]
	v_subb_co_u32_e32 v11, vcc, v19, v21, vcc
	v_add_co_u32_e32 v3, vcc, v6, v16
	v_addc_co_u32_e32 v18, vcc, v7, v17, vcc
	v_mul_lo_u32 v16, v12, s7
	v_mul_lo_u32 v17, v13, s6
	v_mad_u64_u32 v[12:13], s[0:1], v12, s6, v[8:9]
	v_mul_lo_u32 v19, v15, s52
	v_mul_lo_u32 v21, v14, s51
	v_mad_u64_u32 v[6:7], s[0:1], v14, s52, 0
	v_add3_u32 v13, v17, v13, v16
	v_mul_lo_u32 v20, v12, s15
	v_add3_u32 v7, v7, v21, v19
	v_mad_u64_u32 v[16:17], s[0:1], v12, s14, v[10:11]
	v_mul_lo_u32 v21, v13, s14
	v_mov_b32_e32 v19, s53
	v_subrev_co_u32_e32 v12, vcc, s16, v6
	v_subb_co_u32_e32 v13, vcc, v7, v19, vcc
	v_lshlrev_b64 v[6:7], 3, v[14:15]
	v_add3_u32 v14, v21, v17, v20
	v_mul_lo_u32 v17, v16, s19
	v_mul_lo_u32 v19, v14, s18
	v_mad_u64_u32 v[14:15], s[0:1], v16, s18, 0
	v_add_co_u32_e32 v6, vcc, v3, v6
	v_add3_u32 v15, v15, v17, v19
	v_lshlrev_b64 v[14:15], 3, v[14:15]
	v_addc_co_u32_e32 v7, vcc, v18, v7, vcc
	v_add_co_u32_e32 v3, vcc, v4, v14
	v_addc_co_u32_e32 v14, vcc, v5, v15, vcc
	v_lshlrev_b64 v[4:5], 3, v[12:13]
	s_andn2_b64 vcc, exec, s[28:29]
	v_add_co_u32_e64 v4, s[0:1], v3, v4
	v_addc_co_u32_e64 v5, s[0:1], v14, v5, s[0:1]
	s_cbranch_vccnz .LBB4_2
; %bb.16:                               ;   in Loop: Header=BB4_3 Depth=1
	s_mov_b32 s58, 0
	s_mov_b32 s59, 0
	s_branch .LBB4_18
.LBB4_17:                               ;   in Loop: Header=BB4_18 Depth=2
	s_add_i32 s59, s59, 1
	s_add_i32 s58, s58, s57
	s_cmp_eq_u32 s59, s11
	s_cbranch_scc1 .LBB4_2
.LBB4_18:                               ;   Parent Loop BB4_3 Depth=1
                                        ; =>  This Loop Header: Depth=2
                                        ;       Child Loop BB4_21 Depth 3
                                        ;         Child Loop BB4_24 Depth 4
	s_andn2_b64 vcc, exec, s[30:31]
	s_cbranch_vccnz .LBB4_17
; %bb.19:                               ;   in Loop: Header=BB4_18 Depth=2
	s_mul_i32 s0, s59, s20
	s_ashr_i32 s1, s0, 31
	v_mov_b32_e32 v3, s1
	v_add_co_u32_e32 v14, vcc, s0, v8
	v_addc_co_u32_e32 v15, vcc, v9, v3, vcc
	v_cmp_lt_i64_e64 s[0:1], -1, v[14:15]
	v_cmp_gt_i64_e64 s[2:3], s[6:7], v[14:15]
	s_mov_b32 s60, 0
	s_mov_b32 s61, s58
	s_branch .LBB4_21
.LBB4_20:                               ;   in Loop: Header=BB4_21 Depth=3
	s_add_i32 s60, s60, 1
	s_add_i32 s61, s61, s10
	s_cmp_eq_u32 s60, s12
	s_cbranch_scc1 .LBB4_17
.LBB4_21:                               ;   Parent Loop BB4_3 Depth=1
                                        ;     Parent Loop BB4_18 Depth=2
                                        ; =>    This Loop Header: Depth=3
                                        ;         Child Loop BB4_24 Depth 4
	s_andn2_b64 vcc, exec, s[34:35]
	s_cbranch_vccnz .LBB4_20
; %bb.22:                               ;   in Loop: Header=BB4_21 Depth=3
	s_mul_i32 s4, s60, s21
	s_ashr_i32 s5, s4, 31
	v_mov_b32_e32 v3, s5
	v_add_co_u32_e32 v14, vcc, s4, v10
	v_addc_co_u32_e32 v15, vcc, v11, v3, vcc
	v_cmp_lt_i64_e32 vcc, -1, v[14:15]
	s_mov_b32 s62, 0
	s_and_b64 s[26:27], s[0:1], vcc
	v_cmp_gt_i64_e32 vcc, s[14:15], v[14:15]
	s_mov_b32 s63, s13
	s_branch .LBB4_24
.LBB4_23:                               ;   in Loop: Header=BB4_24 Depth=4
	s_or_b64 exec, exec, s[38:39]
	s_waitcnt vmcnt(0)
	global_store_dwordx2 v[6:7], v[14:15], off
	v_mov_b32_e32 v3, s37
	s_add_i32 s63, s63, -1
	s_add_i32 s62, s62, s22
	v_add_co_u32_e64 v6, s[4:5], s36, v6
	s_cmp_eq_u32 s63, 0
	v_addc_co_u32_e64 v7, s[4:5], v7, v3, s[4:5]
	s_cbranch_scc1 .LBB4_20
.LBB4_24:                               ;   Parent Loop BB4_3 Depth=1
                                        ;     Parent Loop BB4_18 Depth=2
                                        ;       Parent Loop BB4_21 Depth=3
                                        ; =>      This Inner Loop Header: Depth=4
	s_ashr_i32 s4, s62, 31
	v_mov_b32_e32 v3, s4
	v_add_co_u32_e64 v14, s[4:5], s62, v12
	v_addc_co_u32_e64 v15, s[4:5], v13, v3, s[4:5]
	v_cmp_lt_i64_e64 s[4:5], -1, v[14:15]
	s_and_b64 s[4:5], s[26:27], s[4:5]
	s_and_b64 s[4:5], s[2:3], s[4:5]
	s_and_b64 s[38:39], s[4:5], vcc
	v_cmp_gt_i64_e64 s[4:5], s[18:19], v[14:15]
	v_mov_b32_e32 v14, 0
	v_mov_b32_e32 v15, 0
	s_and_b64 s[4:5], s[38:39], s[4:5]
	s_and_saveexec_b64 s[38:39], s[4:5]
	s_cbranch_execz .LBB4_23
; %bb.25:                               ;   in Loop: Header=BB4_24 Depth=4
	s_add_i32 s4, s61, s62
	s_ashr_i32 s5, s4, 31
	s_lshl_b64 s[4:5], s[4:5], 3
	v_mov_b32_e32 v3, s5
	v_add_co_u32_e64 v14, s[4:5], s4, v4
	v_addc_co_u32_e64 v15, s[4:5], v5, v3, s[4:5]
	global_load_dwordx2 v[14:15], v[14:15], off
	s_branch .LBB4_23
.LBB4_26:
	s_endpgm
	.section	.rodata,"a",@progbits
	.p2align	6, 0x0
	.amdhsa_kernel _ZN2at6native14vol2col_kernelIdEEvlPKT_iiiiiiiiiiiiiiiiiiPS2_
		.amdhsa_group_segment_fixed_size 0
		.amdhsa_private_segment_fixed_size 0
		.amdhsa_kernarg_size 352
		.amdhsa_user_sgpr_count 6
		.amdhsa_user_sgpr_private_segment_buffer 1
		.amdhsa_user_sgpr_dispatch_ptr 0
		.amdhsa_user_sgpr_queue_ptr 0
		.amdhsa_user_sgpr_kernarg_segment_ptr 1
		.amdhsa_user_sgpr_dispatch_id 0
		.amdhsa_user_sgpr_flat_scratch_init 0
		.amdhsa_user_sgpr_private_segment_size 0
		.amdhsa_uses_dynamic_stack 0
		.amdhsa_system_sgpr_private_segment_wavefront_offset 0
		.amdhsa_system_sgpr_workgroup_id_x 1
		.amdhsa_system_sgpr_workgroup_id_y 0
		.amdhsa_system_sgpr_workgroup_id_z 0
		.amdhsa_system_sgpr_workgroup_info 0
		.amdhsa_system_vgpr_workitem_id 0
		.amdhsa_next_free_vgpr 22
		.amdhsa_next_free_sgpr 64
		.amdhsa_reserve_vcc 1
		.amdhsa_reserve_flat_scratch 0
		.amdhsa_float_round_mode_32 0
		.amdhsa_float_round_mode_16_64 0
		.amdhsa_float_denorm_mode_32 3
		.amdhsa_float_denorm_mode_16_64 3
		.amdhsa_dx10_clamp 1
		.amdhsa_ieee_mode 1
		.amdhsa_fp16_overflow 0
		.amdhsa_exception_fp_ieee_invalid_op 0
		.amdhsa_exception_fp_denorm_src 0
		.amdhsa_exception_fp_ieee_div_zero 0
		.amdhsa_exception_fp_ieee_overflow 0
		.amdhsa_exception_fp_ieee_underflow 0
		.amdhsa_exception_fp_ieee_inexact 0
		.amdhsa_exception_int_div_zero 0
	.end_amdhsa_kernel
	.section	.text._ZN2at6native14vol2col_kernelIdEEvlPKT_iiiiiiiiiiiiiiiiiiPS2_,"axG",@progbits,_ZN2at6native14vol2col_kernelIdEEvlPKT_iiiiiiiiiiiiiiiiiiPS2_,comdat
.Lfunc_end4:
	.size	_ZN2at6native14vol2col_kernelIdEEvlPKT_iiiiiiiiiiiiiiiiiiPS2_, .Lfunc_end4-_ZN2at6native14vol2col_kernelIdEEvlPKT_iiiiiiiiiiiiiiiiiiPS2_
                                        ; -- End function
	.set _ZN2at6native14vol2col_kernelIdEEvlPKT_iiiiiiiiiiiiiiiiiiPS2_.num_vgpr, 22
	.set _ZN2at6native14vol2col_kernelIdEEvlPKT_iiiiiiiiiiiiiiiiiiPS2_.num_agpr, 0
	.set _ZN2at6native14vol2col_kernelIdEEvlPKT_iiiiiiiiiiiiiiiiiiPS2_.numbered_sgpr, 64
	.set _ZN2at6native14vol2col_kernelIdEEvlPKT_iiiiiiiiiiiiiiiiiiPS2_.num_named_barrier, 0
	.set _ZN2at6native14vol2col_kernelIdEEvlPKT_iiiiiiiiiiiiiiiiiiPS2_.private_seg_size, 0
	.set _ZN2at6native14vol2col_kernelIdEEvlPKT_iiiiiiiiiiiiiiiiiiPS2_.uses_vcc, 1
	.set _ZN2at6native14vol2col_kernelIdEEvlPKT_iiiiiiiiiiiiiiiiiiPS2_.uses_flat_scratch, 0
	.set _ZN2at6native14vol2col_kernelIdEEvlPKT_iiiiiiiiiiiiiiiiiiPS2_.has_dyn_sized_stack, 0
	.set _ZN2at6native14vol2col_kernelIdEEvlPKT_iiiiiiiiiiiiiiiiiiPS2_.has_recursion, 0
	.set _ZN2at6native14vol2col_kernelIdEEvlPKT_iiiiiiiiiiiiiiiiiiPS2_.has_indirect_call, 0
	.section	.AMDGPU.csdata,"",@progbits
; Kernel info:
; codeLenInByte = 3380
; TotalNumSgprs: 68
; NumVgprs: 22
; ScratchSize: 0
; MemoryBound: 0
; FloatMode: 240
; IeeeMode: 1
; LDSByteSize: 0 bytes/workgroup (compile time only)
; SGPRBlocks: 8
; VGPRBlocks: 5
; NumSGPRsForWavesPerEU: 68
; NumVGPRsForWavesPerEU: 22
; Occupancy: 10
; WaveLimiterHint : 0
; COMPUTE_PGM_RSRC2:SCRATCH_EN: 0
; COMPUTE_PGM_RSRC2:USER_SGPR: 6
; COMPUTE_PGM_RSRC2:TRAP_HANDLER: 0
; COMPUTE_PGM_RSRC2:TGID_X_EN: 1
; COMPUTE_PGM_RSRC2:TGID_Y_EN: 0
; COMPUTE_PGM_RSRC2:TGID_Z_EN: 0
; COMPUTE_PGM_RSRC2:TIDIG_COMP_CNT: 0
	.section	.text._ZN2at6native14vol2col_kernelIfEEvlPKT_iiiiiiiiiiiiiiiiiiPS2_,"axG",@progbits,_ZN2at6native14vol2col_kernelIfEEvlPKT_iiiiiiiiiiiiiiiiiiPS2_,comdat
	.protected	_ZN2at6native14vol2col_kernelIfEEvlPKT_iiiiiiiiiiiiiiiiiiPS2_ ; -- Begin function _ZN2at6native14vol2col_kernelIfEEvlPKT_iiiiiiiiiiiiiiiiiiPS2_
	.globl	_ZN2at6native14vol2col_kernelIfEEvlPKT_iiiiiiiiiiiiiiiiiiPS2_
	.p2align	8
	.type	_ZN2at6native14vol2col_kernelIfEEvlPKT_iiiiiiiiiiiiiiiiiiPS2_,@function
_ZN2at6native14vol2col_kernelIfEEvlPKT_iiiiiiiiiiiiiiiiiiPS2_: ; @_ZN2at6native14vol2col_kernelIfEEvlPKT_iiiiiiiiiiiiiiiiiiPS2_
; %bb.0:
	s_load_dword s0, s[4:5], 0x6c
	s_load_dwordx4 s[24:27], s[4:5], 0x0
	s_add_u32 s28, s4, 0x60
	v_mov_b32_e32 v2, 0
	s_addc_u32 s29, s5, 0
	s_waitcnt lgkmcnt(0)
	s_and_b32 s36, s0, 0xffff
	v_mov_b32_e32 v1, v2
	v_mov_b32_e32 v3, s6
	v_mad_u64_u32 v[0:1], s[0:1], s36, v3, v[0:1]
	v_cmp_gt_i64_e32 vcc, s[24:25], v[0:1]
	s_and_saveexec_b64 s[0:1], vcc
	s_cbranch_execz .LBB5_26
; %bb.1:
	s_load_dwordx16 s[8:23], s[4:5], 0x10
	s_load_dwordx4 s[0:3], s[4:5], 0x50
	s_load_dword s37, s[28:29], 0x0
	v_mov_b32_e32 v4, s26
	v_mov_b32_e32 v5, s27
	s_waitcnt lgkmcnt(0)
	s_mul_i32 s6, s12, s11
	s_mul_i32 s4, s0, s23
	s_ashr_i32 s41, s0, 31
	s_mov_b32 s42, s0
	s_ashr_i32 s0, s13, 31
	s_mul_hi_i32 s5, s12, s11
	s_mul_i32 s0, s6, s0
	s_mul_hi_u32 s7, s6, s13
	s_add_i32 s0, s7, s0
	s_mul_i32 s5, s5, s13
	s_ashr_i32 s33, s1, 31
	s_ashr_i32 s43, s23, 31
	;; [unrolled: 1-line block ×6, first 2 shown]
	s_mov_b32 s50, s15
	s_ashr_i32 s51, s19, 31
	s_mov_b32 s52, s19
	s_ashr_i32 s53, s16, 31
	s_add_i32 s54, s0, s5
	s_ashr_i32 s7, s8, 31
	s_ashr_i32 s15, s9, 31
	;; [unrolled: 1-line block ×3, first 2 shown]
	s_cmp_gt_i32 s11, 0
	s_cselect_b64 s[28:29], -1, 0
	s_cmp_gt_i32 s12, 0
	s_mul_i32 s0, s4, s1
	s_cselect_b64 s[30:31], -1, 0
	s_cmp_gt_i32 s13, 0
	s_mov_b32 s40, s1
	s_cselect_b64 s[34:35], -1, 0
	s_ashr_i32 s1, s0, 31
	s_mul_i32 s57, s20, s10
	v_mov_b32_e32 v7, s3
	s_mov_b32 s46, s14
	s_mov_b32 s48, s18
	s_mul_i32 s55, s6, s13
	s_mov_b32 s6, s8
	s_mov_b32 s14, s9
	;; [unrolled: 1-line block ×3, first 2 shown]
	s_mul_i32 s56, s37, s36
	s_lshl_b64 s[36:37], s[0:1], 2
	s_mul_i32 s57, s57, s9
	s_mul_i32 s10, s21, s10
	v_mov_b32_e32 v6, s2
	s_mov_b64 s[8:9], 0
	s_branch .LBB5_3
.LBB5_2:                                ;   in Loop: Header=BB5_3 Depth=1
	v_add_co_u32_e32 v0, vcc, s56, v0
	v_addc_co_u32_e32 v1, vcc, 0, v1, vcc
	v_cmp_le_i64_e32 vcc, s[24:25], v[0:1]
	s_or_b64 s[8:9], vcc, s[8:9]
	s_andn2_b64 exec, exec, s[8:9]
	s_cbranch_execz .LBB5_26
.LBB5_3:                                ; =>This Loop Header: Depth=1
                                        ;     Child Loop BB5_18 Depth 2
                                        ;       Child Loop BB5_21 Depth 3
                                        ;         Child Loop BB5_24 Depth 4
	v_or_b32_e32 v3, s33, v1
	v_cmp_ne_u64_e32 vcc, 0, v[2:3]
                                        ; implicit-def: $vgpr8_vgpr9
	s_and_saveexec_b64 s[0:1], vcc
	s_xor_b64 s[2:3], exec, s[0:1]
	s_cbranch_execz .LBB5_5
; %bb.4:                                ;   in Loop: Header=BB5_3 Depth=1
	s_ashr_i32 s4, s33, 31
	s_add_u32 s0, s40, s4
	s_mov_b32 s5, s4
	s_addc_u32 s1, s33, s4
	s_xor_b64 s[26:27], s[0:1], s[4:5]
	v_cvt_f32_u32_e32 v3, s26
	v_cvt_f32_u32_e32 v8, s27
	s_sub_u32 s5, 0, s26
	s_subb_u32 s38, 0, s27
	v_mac_f32_e32 v3, 0x4f800000, v8
	v_rcp_f32_e32 v3, v3
	v_mul_f32_e32 v3, 0x5f7ffffc, v3
	v_mul_f32_e32 v8, 0x2f800000, v3
	v_trunc_f32_e32 v8, v8
	v_mac_f32_e32 v3, 0xcf800000, v8
	v_cvt_u32_f32_e32 v8, v8
	v_cvt_u32_f32_e32 v3, v3
	v_readfirstlane_b32 s39, v8
	v_readfirstlane_b32 s0, v3
	s_mul_i32 s1, s5, s39
	s_mul_hi_u32 s59, s5, s0
	s_mul_i32 s58, s38, s0
	s_add_i32 s1, s59, s1
	s_add_i32 s1, s1, s58
	s_mul_i32 s60, s5, s0
	s_mul_i32 s59, s0, s1
	s_mul_hi_u32 s61, s0, s60
	s_mul_hi_u32 s58, s0, s1
	s_add_u32 s59, s61, s59
	s_addc_u32 s58, 0, s58
	s_mul_hi_u32 s62, s39, s60
	s_mul_i32 s60, s39, s60
	s_add_u32 s59, s59, s60
	s_mul_hi_u32 s61, s39, s1
	s_addc_u32 s58, s58, s62
	s_addc_u32 s59, s61, 0
	s_mul_i32 s1, s39, s1
	s_add_u32 s1, s58, s1
	s_addc_u32 s58, 0, s59
	s_add_u32 s59, s0, s1
	s_cselect_b64 s[0:1], -1, 0
	s_cmp_lg_u64 s[0:1], 0
	s_addc_u32 s39, s39, s58
	s_mul_i32 s0, s5, s39
	s_mul_hi_u32 s1, s5, s59
	s_add_i32 s0, s1, s0
	s_mul_i32 s38, s38, s59
	s_add_i32 s0, s0, s38
	s_mul_i32 s5, s5, s59
	s_mul_hi_u32 s38, s39, s5
	s_mul_i32 s58, s39, s5
	s_mul_i32 s61, s59, s0
	s_mul_hi_u32 s5, s59, s5
	s_mul_hi_u32 s60, s59, s0
	s_add_u32 s5, s5, s61
	s_addc_u32 s60, 0, s60
	s_add_u32 s5, s5, s58
	s_mul_hi_u32 s1, s39, s0
	s_addc_u32 s5, s60, s38
	s_addc_u32 s1, s1, 0
	s_mul_i32 s0, s39, s0
	s_add_u32 s0, s5, s0
	s_addc_u32 s5, 0, s1
	s_add_u32 s38, s59, s0
	s_cselect_b64 s[0:1], -1, 0
	v_ashrrev_i32_e32 v3, 31, v1
	s_cmp_lg_u64 s[0:1], 0
	v_add_co_u32_e32 v8, vcc, v0, v3
	s_addc_u32 s5, s39, s5
	v_xor_b32_e32 v12, v8, v3
	v_mad_u64_u32 v[8:9], s[0:1], v12, s5, 0
	v_mul_hi_u32 v11, v12, s38
	v_addc_co_u32_e32 v10, vcc, v1, v3, vcc
	v_xor_b32_e32 v13, v10, v3
	v_add_co_u32_e32 v14, vcc, v11, v8
	v_addc_co_u32_e32 v15, vcc, 0, v9, vcc
	v_mad_u64_u32 v[8:9], s[0:1], v13, s38, 0
	v_mad_u64_u32 v[10:11], s[0:1], v13, s5, 0
	v_add_co_u32_e32 v8, vcc, v14, v8
	v_addc_co_u32_e32 v8, vcc, v15, v9, vcc
	v_addc_co_u32_e32 v9, vcc, 0, v11, vcc
	v_add_co_u32_e32 v10, vcc, v8, v10
	v_addc_co_u32_e32 v11, vcc, 0, v9, vcc
	v_mul_lo_u32 v14, s27, v10
	v_mul_lo_u32 v15, s26, v11
	v_mad_u64_u32 v[8:9], s[0:1], s26, v10, 0
	v_xor_b32_e32 v3, s4, v3
	v_add3_u32 v9, v9, v15, v14
	v_sub_u32_e32 v14, v13, v9
	v_mov_b32_e32 v15, s27
	v_sub_co_u32_e32 v8, vcc, v12, v8
	v_subb_co_u32_e64 v12, s[0:1], v14, v15, vcc
	v_subrev_co_u32_e64 v14, s[0:1], s26, v8
	v_subbrev_co_u32_e64 v12, s[0:1], 0, v12, s[0:1]
	v_cmp_le_u32_e64 s[0:1], s27, v12
	v_cndmask_b32_e64 v15, 0, -1, s[0:1]
	v_cmp_le_u32_e64 s[0:1], s26, v14
	v_cndmask_b32_e64 v14, 0, -1, s[0:1]
	v_cmp_eq_u32_e64 s[0:1], s27, v12
	v_cndmask_b32_e64 v12, v15, v14, s[0:1]
	v_add_co_u32_e64 v14, s[0:1], 2, v10
	v_subb_co_u32_e32 v9, vcc, v13, v9, vcc
	v_addc_co_u32_e64 v15, s[0:1], 0, v11, s[0:1]
	v_cmp_le_u32_e32 vcc, s27, v9
	v_add_co_u32_e64 v16, s[0:1], 1, v10
	v_cndmask_b32_e64 v13, 0, -1, vcc
	v_cmp_le_u32_e32 vcc, s26, v8
	v_addc_co_u32_e64 v17, s[0:1], 0, v11, s[0:1]
	v_cndmask_b32_e64 v8, 0, -1, vcc
	v_cmp_eq_u32_e32 vcc, s27, v9
	v_cmp_ne_u32_e64 s[0:1], 0, v12
	v_cndmask_b32_e32 v8, v13, v8, vcc
	v_cndmask_b32_e64 v12, v17, v15, s[0:1]
	v_cmp_ne_u32_e32 vcc, 0, v8
	v_cndmask_b32_e64 v9, v16, v14, s[0:1]
	v_cndmask_b32_e32 v8, v11, v12, vcc
	v_cndmask_b32_e32 v9, v10, v9, vcc
	v_xor_b32_e32 v10, v8, v3
	v_xor_b32_e32 v8, v9, v3
	v_sub_co_u32_e32 v8, vcc, v8, v3
	v_subb_co_u32_e32 v9, vcc, v10, v3, vcc
.LBB5_5:                                ;   in Loop: Header=BB5_3 Depth=1
	s_andn2_saveexec_b64 s[0:1], s[2:3]
	s_cbranch_execz .LBB5_7
; %bb.6:                                ;   in Loop: Header=BB5_3 Depth=1
	v_cvt_f32_u32_e32 v3, s40
	s_sub_i32 s2, 0, s40
	v_rcp_iflag_f32_e32 v3, v3
	v_mul_f32_e32 v3, 0x4f7ffffe, v3
	v_cvt_u32_f32_e32 v3, v3
	v_mul_lo_u32 v8, s2, v3
	v_mul_hi_u32 v8, v3, v8
	v_add_u32_e32 v3, v3, v8
	v_mul_hi_u32 v3, v0, v3
	v_mul_lo_u32 v8, v3, s40
	v_add_u32_e32 v9, 1, v3
	v_sub_u32_e32 v8, v0, v8
	v_subrev_u32_e32 v10, s40, v8
	v_cmp_le_u32_e32 vcc, s40, v8
	v_cndmask_b32_e32 v8, v8, v10, vcc
	v_cndmask_b32_e32 v3, v3, v9, vcc
	v_add_u32_e32 v9, 1, v3
	v_cmp_le_u32_e32 vcc, s40, v8
	v_cndmask_b32_e32 v8, v3, v9, vcc
	v_mov_b32_e32 v9, v2
.LBB5_7:                                ;   in Loop: Header=BB5_3 Depth=1
	s_or_b64 exec, exec, s[0:1]
	v_or_b32_e32 v3, s41, v9
	v_cmp_ne_u64_e32 vcc, 0, v[2:3]
                                        ; implicit-def: $vgpr10_vgpr11
	s_and_saveexec_b64 s[0:1], vcc
	s_xor_b64 s[2:3], exec, s[0:1]
	s_cbranch_execz .LBB5_9
; %bb.8:                                ;   in Loop: Header=BB5_3 Depth=1
	s_ashr_i32 s4, s41, 31
	s_add_u32 s0, s42, s4
	s_mov_b32 s5, s4
	s_addc_u32 s1, s41, s4
	s_xor_b64 s[26:27], s[0:1], s[4:5]
	v_cvt_f32_u32_e32 v3, s26
	v_cvt_f32_u32_e32 v10, s27
	s_sub_u32 s5, 0, s26
	s_subb_u32 s38, 0, s27
	v_mac_f32_e32 v3, 0x4f800000, v10
	v_rcp_f32_e32 v3, v3
	v_mul_f32_e32 v3, 0x5f7ffffc, v3
	v_mul_f32_e32 v10, 0x2f800000, v3
	v_trunc_f32_e32 v10, v10
	v_mac_f32_e32 v3, 0xcf800000, v10
	v_cvt_u32_f32_e32 v10, v10
	v_cvt_u32_f32_e32 v3, v3
	v_readfirstlane_b32 s39, v10
	v_readfirstlane_b32 s0, v3
	s_mul_i32 s1, s5, s39
	s_mul_hi_u32 s59, s5, s0
	s_mul_i32 s58, s38, s0
	s_add_i32 s1, s59, s1
	s_add_i32 s1, s1, s58
	s_mul_i32 s60, s5, s0
	s_mul_i32 s59, s0, s1
	s_mul_hi_u32 s61, s0, s60
	s_mul_hi_u32 s58, s0, s1
	s_add_u32 s59, s61, s59
	s_addc_u32 s58, 0, s58
	s_mul_hi_u32 s62, s39, s60
	s_mul_i32 s60, s39, s60
	s_add_u32 s59, s59, s60
	s_mul_hi_u32 s61, s39, s1
	s_addc_u32 s58, s58, s62
	s_addc_u32 s59, s61, 0
	s_mul_i32 s1, s39, s1
	s_add_u32 s1, s58, s1
	s_addc_u32 s58, 0, s59
	s_add_u32 s59, s0, s1
	s_cselect_b64 s[0:1], -1, 0
	s_cmp_lg_u64 s[0:1], 0
	s_addc_u32 s39, s39, s58
	s_mul_i32 s0, s5, s39
	s_mul_hi_u32 s1, s5, s59
	s_add_i32 s0, s1, s0
	s_mul_i32 s38, s38, s59
	s_add_i32 s0, s0, s38
	s_mul_i32 s5, s5, s59
	s_mul_hi_u32 s38, s39, s5
	s_mul_i32 s58, s39, s5
	s_mul_i32 s61, s59, s0
	s_mul_hi_u32 s5, s59, s5
	s_mul_hi_u32 s60, s59, s0
	s_add_u32 s5, s5, s61
	s_addc_u32 s60, 0, s60
	s_add_u32 s5, s5, s58
	s_mul_hi_u32 s1, s39, s0
	s_addc_u32 s5, s60, s38
	s_addc_u32 s1, s1, 0
	s_mul_i32 s0, s39, s0
	s_add_u32 s0, s5, s0
	s_addc_u32 s5, 0, s1
	s_add_u32 s38, s59, s0
	s_cselect_b64 s[0:1], -1, 0
	v_ashrrev_i32_e32 v3, 31, v9
	s_cmp_lg_u64 s[0:1], 0
	v_add_co_u32_e32 v10, vcc, v8, v3
	s_addc_u32 s5, s39, s5
	v_xor_b32_e32 v14, v10, v3
	v_mad_u64_u32 v[10:11], s[0:1], v14, s5, 0
	v_mul_hi_u32 v13, v14, s38
	v_addc_co_u32_e32 v12, vcc, v9, v3, vcc
	v_xor_b32_e32 v15, v12, v3
	v_add_co_u32_e32 v16, vcc, v13, v10
	v_addc_co_u32_e32 v17, vcc, 0, v11, vcc
	v_mad_u64_u32 v[10:11], s[0:1], v15, s38, 0
	v_mad_u64_u32 v[12:13], s[0:1], v15, s5, 0
	v_add_co_u32_e32 v10, vcc, v16, v10
	v_addc_co_u32_e32 v10, vcc, v17, v11, vcc
	v_addc_co_u32_e32 v11, vcc, 0, v13, vcc
	v_add_co_u32_e32 v12, vcc, v10, v12
	v_addc_co_u32_e32 v13, vcc, 0, v11, vcc
	v_mul_lo_u32 v16, s27, v12
	v_mul_lo_u32 v17, s26, v13
	v_mad_u64_u32 v[10:11], s[0:1], s26, v12, 0
	v_xor_b32_e32 v3, s4, v3
	v_add3_u32 v11, v11, v17, v16
	v_sub_u32_e32 v16, v15, v11
	v_mov_b32_e32 v17, s27
	v_sub_co_u32_e32 v10, vcc, v14, v10
	v_subb_co_u32_e64 v14, s[0:1], v16, v17, vcc
	v_subrev_co_u32_e64 v16, s[0:1], s26, v10
	v_subbrev_co_u32_e64 v14, s[0:1], 0, v14, s[0:1]
	v_cmp_le_u32_e64 s[0:1], s27, v14
	v_cndmask_b32_e64 v17, 0, -1, s[0:1]
	v_cmp_le_u32_e64 s[0:1], s26, v16
	v_cndmask_b32_e64 v16, 0, -1, s[0:1]
	v_cmp_eq_u32_e64 s[0:1], s27, v14
	v_cndmask_b32_e64 v14, v17, v16, s[0:1]
	v_add_co_u32_e64 v16, s[0:1], 2, v12
	v_subb_co_u32_e32 v11, vcc, v15, v11, vcc
	v_addc_co_u32_e64 v17, s[0:1], 0, v13, s[0:1]
	v_cmp_le_u32_e32 vcc, s27, v11
	v_add_co_u32_e64 v18, s[0:1], 1, v12
	v_cndmask_b32_e64 v15, 0, -1, vcc
	v_cmp_le_u32_e32 vcc, s26, v10
	v_addc_co_u32_e64 v19, s[0:1], 0, v13, s[0:1]
	v_cndmask_b32_e64 v10, 0, -1, vcc
	v_cmp_eq_u32_e32 vcc, s27, v11
	v_cmp_ne_u32_e64 s[0:1], 0, v14
	v_cndmask_b32_e32 v10, v15, v10, vcc
	v_cndmask_b32_e64 v14, v19, v17, s[0:1]
	v_cmp_ne_u32_e32 vcc, 0, v10
	v_cndmask_b32_e64 v11, v18, v16, s[0:1]
	v_cndmask_b32_e32 v10, v13, v14, vcc
	v_cndmask_b32_e32 v11, v12, v11, vcc
	v_xor_b32_e32 v12, v10, v3
	v_xor_b32_e32 v10, v11, v3
	v_sub_co_u32_e32 v10, vcc, v10, v3
	v_subb_co_u32_e32 v11, vcc, v12, v3, vcc
.LBB5_9:                                ;   in Loop: Header=BB5_3 Depth=1
	s_andn2_saveexec_b64 s[0:1], s[2:3]
	s_cbranch_execz .LBB5_11
; %bb.10:                               ;   in Loop: Header=BB5_3 Depth=1
	v_cvt_f32_u32_e32 v3, s42
	s_sub_i32 s2, 0, s42
	v_rcp_iflag_f32_e32 v3, v3
	v_mul_f32_e32 v3, 0x4f7ffffe, v3
	v_cvt_u32_f32_e32 v3, v3
	v_mul_lo_u32 v10, s2, v3
	v_mul_hi_u32 v10, v3, v10
	v_add_u32_e32 v3, v3, v10
	v_mul_hi_u32 v3, v8, v3
	v_mul_lo_u32 v10, v3, s42
	v_add_u32_e32 v11, 1, v3
	v_sub_u32_e32 v10, v8, v10
	v_subrev_u32_e32 v12, s42, v10
	v_cmp_le_u32_e32 vcc, s42, v10
	v_cndmask_b32_e32 v10, v10, v12, vcc
	v_cndmask_b32_e32 v3, v3, v11, vcc
	v_add_u32_e32 v11, 1, v3
	v_cmp_le_u32_e32 vcc, s42, v10
	v_cndmask_b32_e32 v10, v3, v11, vcc
	v_mov_b32_e32 v11, v2
.LBB5_11:                               ;   in Loop: Header=BB5_3 Depth=1
	s_or_b64 exec, exec, s[0:1]
	v_or_b32_e32 v3, s43, v11
	v_cmp_ne_u64_e32 vcc, 0, v[2:3]
                                        ; implicit-def: $vgpr12_vgpr13
	s_and_saveexec_b64 s[0:1], vcc
	s_xor_b64 s[2:3], exec, s[0:1]
	s_cbranch_execz .LBB5_13
; %bb.12:                               ;   in Loop: Header=BB5_3 Depth=1
	s_ashr_i32 s4, s43, 31
	s_add_u32 s0, s23, s4
	s_mov_b32 s5, s4
	s_addc_u32 s1, s43, s4
	s_xor_b64 s[26:27], s[0:1], s[4:5]
	v_cvt_f32_u32_e32 v3, s26
	v_cvt_f32_u32_e32 v12, s27
	s_sub_u32 s5, 0, s26
	s_subb_u32 s38, 0, s27
	v_mac_f32_e32 v3, 0x4f800000, v12
	v_rcp_f32_e32 v3, v3
	v_mul_f32_e32 v3, 0x5f7ffffc, v3
	v_mul_f32_e32 v12, 0x2f800000, v3
	v_trunc_f32_e32 v12, v12
	v_mac_f32_e32 v3, 0xcf800000, v12
	v_cvt_u32_f32_e32 v12, v12
	v_cvt_u32_f32_e32 v3, v3
	v_readfirstlane_b32 s39, v12
	v_readfirstlane_b32 s0, v3
	s_mul_i32 s1, s5, s39
	s_mul_hi_u32 s59, s5, s0
	s_mul_i32 s58, s38, s0
	s_add_i32 s1, s59, s1
	s_add_i32 s1, s1, s58
	s_mul_i32 s60, s5, s0
	s_mul_i32 s59, s0, s1
	s_mul_hi_u32 s61, s0, s60
	s_mul_hi_u32 s58, s0, s1
	s_add_u32 s59, s61, s59
	s_addc_u32 s58, 0, s58
	s_mul_hi_u32 s62, s39, s60
	s_mul_i32 s60, s39, s60
	s_add_u32 s59, s59, s60
	s_mul_hi_u32 s61, s39, s1
	s_addc_u32 s58, s58, s62
	s_addc_u32 s59, s61, 0
	s_mul_i32 s1, s39, s1
	s_add_u32 s1, s58, s1
	s_addc_u32 s58, 0, s59
	s_add_u32 s59, s0, s1
	s_cselect_b64 s[0:1], -1, 0
	s_cmp_lg_u64 s[0:1], 0
	s_addc_u32 s39, s39, s58
	s_mul_i32 s0, s5, s39
	s_mul_hi_u32 s1, s5, s59
	s_add_i32 s0, s1, s0
	s_mul_i32 s38, s38, s59
	s_add_i32 s0, s0, s38
	s_mul_i32 s5, s5, s59
	s_mul_hi_u32 s38, s39, s5
	s_mul_i32 s58, s39, s5
	s_mul_i32 s61, s59, s0
	s_mul_hi_u32 s5, s59, s5
	s_mul_hi_u32 s60, s59, s0
	s_add_u32 s5, s5, s61
	s_addc_u32 s60, 0, s60
	s_add_u32 s5, s5, s58
	s_mul_hi_u32 s1, s39, s0
	s_addc_u32 s5, s60, s38
	s_addc_u32 s1, s1, 0
	s_mul_i32 s0, s39, s0
	s_add_u32 s0, s5, s0
	s_addc_u32 s5, 0, s1
	s_add_u32 s38, s59, s0
	s_cselect_b64 s[0:1], -1, 0
	v_ashrrev_i32_e32 v3, 31, v11
	s_cmp_lg_u64 s[0:1], 0
	v_add_co_u32_e32 v12, vcc, v10, v3
	s_addc_u32 s5, s39, s5
	v_xor_b32_e32 v16, v12, v3
	v_mad_u64_u32 v[12:13], s[0:1], v16, s5, 0
	v_mul_hi_u32 v15, v16, s38
	v_addc_co_u32_e32 v14, vcc, v11, v3, vcc
	v_xor_b32_e32 v17, v14, v3
	v_add_co_u32_e32 v18, vcc, v15, v12
	v_addc_co_u32_e32 v19, vcc, 0, v13, vcc
	v_mad_u64_u32 v[12:13], s[0:1], v17, s38, 0
	v_mad_u64_u32 v[14:15], s[0:1], v17, s5, 0
	v_add_co_u32_e32 v12, vcc, v18, v12
	v_addc_co_u32_e32 v12, vcc, v19, v13, vcc
	v_addc_co_u32_e32 v13, vcc, 0, v15, vcc
	v_add_co_u32_e32 v14, vcc, v12, v14
	v_addc_co_u32_e32 v15, vcc, 0, v13, vcc
	v_mul_lo_u32 v18, s27, v14
	v_mul_lo_u32 v19, s26, v15
	v_mad_u64_u32 v[12:13], s[0:1], s26, v14, 0
	v_xor_b32_e32 v3, s4, v3
	v_add3_u32 v13, v13, v19, v18
	v_sub_u32_e32 v18, v17, v13
	v_mov_b32_e32 v19, s27
	v_sub_co_u32_e32 v12, vcc, v16, v12
	v_subb_co_u32_e64 v16, s[0:1], v18, v19, vcc
	v_subrev_co_u32_e64 v18, s[0:1], s26, v12
	v_subbrev_co_u32_e64 v16, s[0:1], 0, v16, s[0:1]
	v_cmp_le_u32_e64 s[0:1], s27, v16
	v_cndmask_b32_e64 v19, 0, -1, s[0:1]
	v_cmp_le_u32_e64 s[0:1], s26, v18
	v_cndmask_b32_e64 v18, 0, -1, s[0:1]
	v_cmp_eq_u32_e64 s[0:1], s27, v16
	v_cndmask_b32_e64 v16, v19, v18, s[0:1]
	v_add_co_u32_e64 v18, s[0:1], 2, v14
	v_subb_co_u32_e32 v13, vcc, v17, v13, vcc
	v_addc_co_u32_e64 v19, s[0:1], 0, v15, s[0:1]
	v_cmp_le_u32_e32 vcc, s27, v13
	v_add_co_u32_e64 v20, s[0:1], 1, v14
	v_cndmask_b32_e64 v17, 0, -1, vcc
	v_cmp_le_u32_e32 vcc, s26, v12
	v_addc_co_u32_e64 v21, s[0:1], 0, v15, s[0:1]
	v_cndmask_b32_e64 v12, 0, -1, vcc
	v_cmp_eq_u32_e32 vcc, s27, v13
	v_cmp_ne_u32_e64 s[0:1], 0, v16
	v_cndmask_b32_e32 v12, v17, v12, vcc
	v_cndmask_b32_e64 v16, v21, v19, s[0:1]
	v_cmp_ne_u32_e32 vcc, 0, v12
	v_cndmask_b32_e64 v13, v20, v18, s[0:1]
	v_cndmask_b32_e32 v12, v15, v16, vcc
	v_cndmask_b32_e32 v13, v14, v13, vcc
	v_xor_b32_e32 v14, v12, v3
	v_xor_b32_e32 v12, v13, v3
	v_sub_co_u32_e32 v12, vcc, v12, v3
	v_subb_co_u32_e32 v13, vcc, v14, v3, vcc
.LBB5_13:                               ;   in Loop: Header=BB5_3 Depth=1
	s_andn2_saveexec_b64 s[0:1], s[2:3]
	s_cbranch_execz .LBB5_15
; %bb.14:                               ;   in Loop: Header=BB5_3 Depth=1
	v_cvt_f32_u32_e32 v3, s23
	s_sub_i32 s2, 0, s23
	v_rcp_iflag_f32_e32 v3, v3
	v_mul_f32_e32 v3, 0x4f7ffffe, v3
	v_cvt_u32_f32_e32 v3, v3
	v_mul_lo_u32 v12, s2, v3
	v_mul_hi_u32 v12, v3, v12
	v_add_u32_e32 v3, v3, v12
	v_mul_hi_u32 v3, v10, v3
	v_mul_lo_u32 v12, v3, s23
	v_add_u32_e32 v13, 1, v3
	v_sub_u32_e32 v12, v10, v12
	v_subrev_u32_e32 v14, s23, v12
	v_cmp_le_u32_e32 vcc, s23, v12
	v_cndmask_b32_e32 v12, v12, v14, vcc
	v_cndmask_b32_e32 v3, v3, v13, vcc
	v_add_u32_e32 v13, 1, v3
	v_cmp_le_u32_e32 vcc, s23, v12
	v_cndmask_b32_e32 v12, v3, v13, vcc
	v_mov_b32_e32 v13, v2
.LBB5_15:                               ;   in Loop: Header=BB5_3 Depth=1
	s_or_b64 exec, exec, s[0:1]
	v_mul_lo_u32 v3, v11, s42
	v_mul_lo_u32 v16, v10, s41
	v_mad_u64_u32 v[14:15], s[0:1], v10, s42, 0
	v_mul_lo_u32 v19, v9, s40
	v_mul_lo_u32 v20, v8, s33
	v_add3_u32 v3, v15, v16, v3
	v_mad_u64_u32 v[15:16], s[0:1], v8, s40, 0
	v_sub_co_u32_e32 v17, vcc, v8, v14
	v_subb_co_u32_e32 v18, vcc, v9, v3, vcc
	v_add3_u32 v3, v16, v20, v19
	v_mul_lo_u32 v16, v13, s23
	v_mul_lo_u32 v19, v12, s43
	v_mad_u64_u32 v[8:9], s[0:1], v12, s23, 0
	v_sub_co_u32_e32 v14, vcc, v0, v15
	v_subb_co_u32_e32 v15, vcc, v1, v3, vcc
	v_add3_u32 v3, v9, v19, v16
	v_sub_co_u32_e32 v9, vcc, v10, v8
	v_subb_co_u32_e32 v10, vcc, v11, v3, vcc
	v_mul_lo_u32 v11, v10, s17
	v_mul_lo_u32 v16, v9, s44
	v_mad_u64_u32 v[19:20], s[0:1], v9, s17, 0
	v_mul_lo_u32 v3, v3, s55
	v_mul_lo_u32 v21, v17, s47
	v_add3_u32 v16, v20, v16, v11
	v_mad_u64_u32 v[10:11], s[0:1], v8, s55, v[9:10]
	v_mul_lo_u32 v20, v8, s54
	v_mov_b32_e32 v9, s45
	v_subrev_co_u32_e32 v8, vcc, s46, v19
	v_add3_u32 v3, v3, v11, v20
	v_mul_lo_u32 v20, v10, s41
	v_mad_u64_u32 v[10:11], s[0:1], v10, s42, v[17:18]
	v_mul_lo_u32 v3, v3, s42
	v_subb_co_u32_e32 v9, vcc, v16, v9, vcc
	v_mul_lo_u32 v19, v18, s48
	v_mad_u64_u32 v[16:17], s[0:1], v17, s48, 0
	v_add3_u32 v3, v3, v11, v20
	v_mul_lo_u32 v3, v3, s40
	v_add3_u32 v19, v17, v21, v19
	v_mul_lo_u32 v20, v10, s33
	v_mad_u64_u32 v[17:18], s[0:1], v10, s40, 0
	v_mov_b32_e32 v21, s49
	v_subrev_co_u32_e32 v10, vcc, s50, v16
	v_add3_u32 v18, v18, v20, v3
	v_lshlrev_b64 v[16:17], 2, v[17:18]
	v_subb_co_u32_e32 v11, vcc, v19, v21, vcc
	v_add_co_u32_e32 v3, vcc, v6, v16
	v_addc_co_u32_e32 v18, vcc, v7, v17, vcc
	v_mul_lo_u32 v16, v12, s7
	v_mul_lo_u32 v17, v13, s6
	v_mad_u64_u32 v[12:13], s[0:1], v12, s6, v[8:9]
	v_mul_lo_u32 v19, v15, s52
	v_mul_lo_u32 v21, v14, s51
	v_mad_u64_u32 v[6:7], s[0:1], v14, s52, 0
	v_add3_u32 v13, v17, v13, v16
	v_mul_lo_u32 v20, v12, s15
	v_add3_u32 v7, v7, v21, v19
	v_mad_u64_u32 v[16:17], s[0:1], v12, s14, v[10:11]
	v_mul_lo_u32 v21, v13, s14
	v_mov_b32_e32 v19, s53
	v_subrev_co_u32_e32 v12, vcc, s16, v6
	v_subb_co_u32_e32 v13, vcc, v7, v19, vcc
	v_lshlrev_b64 v[6:7], 2, v[14:15]
	v_add3_u32 v14, v21, v17, v20
	v_mul_lo_u32 v17, v16, s19
	v_mul_lo_u32 v19, v14, s18
	v_mad_u64_u32 v[14:15], s[0:1], v16, s18, 0
	v_add_co_u32_e32 v6, vcc, v3, v6
	v_add3_u32 v15, v15, v17, v19
	v_lshlrev_b64 v[14:15], 2, v[14:15]
	v_addc_co_u32_e32 v7, vcc, v18, v7, vcc
	v_add_co_u32_e32 v3, vcc, v4, v14
	v_addc_co_u32_e32 v14, vcc, v5, v15, vcc
	v_lshlrev_b64 v[4:5], 2, v[12:13]
	s_andn2_b64 vcc, exec, s[28:29]
	v_add_co_u32_e64 v4, s[0:1], v3, v4
	v_addc_co_u32_e64 v5, s[0:1], v14, v5, s[0:1]
	s_cbranch_vccnz .LBB5_2
; %bb.16:                               ;   in Loop: Header=BB5_3 Depth=1
	s_mov_b32 s58, 0
	s_mov_b32 s59, 0
	s_branch .LBB5_18
.LBB5_17:                               ;   in Loop: Header=BB5_18 Depth=2
	s_add_i32 s59, s59, 1
	s_add_i32 s58, s58, s57
	s_cmp_eq_u32 s59, s11
	s_cbranch_scc1 .LBB5_2
.LBB5_18:                               ;   Parent Loop BB5_3 Depth=1
                                        ; =>  This Loop Header: Depth=2
                                        ;       Child Loop BB5_21 Depth 3
                                        ;         Child Loop BB5_24 Depth 4
	s_andn2_b64 vcc, exec, s[30:31]
	s_cbranch_vccnz .LBB5_17
; %bb.19:                               ;   in Loop: Header=BB5_18 Depth=2
	s_mul_i32 s0, s59, s20
	s_ashr_i32 s1, s0, 31
	v_mov_b32_e32 v3, s1
	v_add_co_u32_e32 v14, vcc, s0, v8
	v_addc_co_u32_e32 v15, vcc, v9, v3, vcc
	v_cmp_lt_i64_e64 s[0:1], -1, v[14:15]
	v_cmp_gt_i64_e64 s[2:3], s[6:7], v[14:15]
	s_mov_b32 s60, 0
	s_mov_b32 s61, s58
	s_branch .LBB5_21
.LBB5_20:                               ;   in Loop: Header=BB5_21 Depth=3
	s_add_i32 s60, s60, 1
	s_add_i32 s61, s61, s10
	s_cmp_eq_u32 s60, s12
	s_cbranch_scc1 .LBB5_17
.LBB5_21:                               ;   Parent Loop BB5_3 Depth=1
                                        ;     Parent Loop BB5_18 Depth=2
                                        ; =>    This Loop Header: Depth=3
                                        ;         Child Loop BB5_24 Depth 4
	s_andn2_b64 vcc, exec, s[34:35]
	s_cbranch_vccnz .LBB5_20
; %bb.22:                               ;   in Loop: Header=BB5_21 Depth=3
	s_mul_i32 s4, s60, s21
	s_ashr_i32 s5, s4, 31
	v_mov_b32_e32 v3, s5
	v_add_co_u32_e32 v14, vcc, s4, v10
	v_addc_co_u32_e32 v15, vcc, v11, v3, vcc
	v_cmp_lt_i64_e32 vcc, -1, v[14:15]
	s_mov_b32 s62, 0
	s_and_b64 s[26:27], s[0:1], vcc
	v_cmp_gt_i64_e32 vcc, s[14:15], v[14:15]
	s_mov_b32 s63, s13
	s_branch .LBB5_24
.LBB5_23:                               ;   in Loop: Header=BB5_24 Depth=4
	s_or_b64 exec, exec, s[38:39]
	s_waitcnt vmcnt(0)
	global_store_dword v[6:7], v3, off
	v_mov_b32_e32 v3, s37
	s_add_i32 s63, s63, -1
	s_add_i32 s62, s62, s22
	v_add_co_u32_e64 v6, s[4:5], s36, v6
	s_cmp_eq_u32 s63, 0
	v_addc_co_u32_e64 v7, s[4:5], v7, v3, s[4:5]
	s_cbranch_scc1 .LBB5_20
.LBB5_24:                               ;   Parent Loop BB5_3 Depth=1
                                        ;     Parent Loop BB5_18 Depth=2
                                        ;       Parent Loop BB5_21 Depth=3
                                        ; =>      This Inner Loop Header: Depth=4
	s_ashr_i32 s4, s62, 31
	v_mov_b32_e32 v3, s4
	v_add_co_u32_e64 v14, s[4:5], s62, v12
	v_addc_co_u32_e64 v15, s[4:5], v13, v3, s[4:5]
	v_cmp_lt_i64_e64 s[4:5], -1, v[14:15]
	v_mov_b32_e32 v3, 0
	s_and_b64 s[4:5], s[26:27], s[4:5]
	s_and_b64 s[38:39], s[2:3], s[4:5]
	v_cmp_gt_i64_e64 s[4:5], s[18:19], v[14:15]
	s_and_b64 s[38:39], s[38:39], vcc
	s_and_b64 s[4:5], s[38:39], s[4:5]
	s_and_saveexec_b64 s[38:39], s[4:5]
	s_cbranch_execz .LBB5_23
; %bb.25:                               ;   in Loop: Header=BB5_24 Depth=4
	s_add_i32 s4, s61, s62
	s_ashr_i32 s5, s4, 31
	s_lshl_b64 s[4:5], s[4:5], 2
	v_mov_b32_e32 v3, s5
	v_add_co_u32_e64 v14, s[4:5], s4, v4
	v_addc_co_u32_e64 v15, s[4:5], v5, v3, s[4:5]
	global_load_dword v3, v[14:15], off
	s_branch .LBB5_23
.LBB5_26:
	s_endpgm
	.section	.rodata,"a",@progbits
	.p2align	6, 0x0
	.amdhsa_kernel _ZN2at6native14vol2col_kernelIfEEvlPKT_iiiiiiiiiiiiiiiiiiPS2_
		.amdhsa_group_segment_fixed_size 0
		.amdhsa_private_segment_fixed_size 0
		.amdhsa_kernarg_size 352
		.amdhsa_user_sgpr_count 6
		.amdhsa_user_sgpr_private_segment_buffer 1
		.amdhsa_user_sgpr_dispatch_ptr 0
		.amdhsa_user_sgpr_queue_ptr 0
		.amdhsa_user_sgpr_kernarg_segment_ptr 1
		.amdhsa_user_sgpr_dispatch_id 0
		.amdhsa_user_sgpr_flat_scratch_init 0
		.amdhsa_user_sgpr_private_segment_size 0
		.amdhsa_uses_dynamic_stack 0
		.amdhsa_system_sgpr_private_segment_wavefront_offset 0
		.amdhsa_system_sgpr_workgroup_id_x 1
		.amdhsa_system_sgpr_workgroup_id_y 0
		.amdhsa_system_sgpr_workgroup_id_z 0
		.amdhsa_system_sgpr_workgroup_info 0
		.amdhsa_system_vgpr_workitem_id 0
		.amdhsa_next_free_vgpr 22
		.amdhsa_next_free_sgpr 64
		.amdhsa_reserve_vcc 1
		.amdhsa_reserve_flat_scratch 0
		.amdhsa_float_round_mode_32 0
		.amdhsa_float_round_mode_16_64 0
		.amdhsa_float_denorm_mode_32 3
		.amdhsa_float_denorm_mode_16_64 3
		.amdhsa_dx10_clamp 1
		.amdhsa_ieee_mode 1
		.amdhsa_fp16_overflow 0
		.amdhsa_exception_fp_ieee_invalid_op 0
		.amdhsa_exception_fp_denorm_src 0
		.amdhsa_exception_fp_ieee_div_zero 0
		.amdhsa_exception_fp_ieee_overflow 0
		.amdhsa_exception_fp_ieee_underflow 0
		.amdhsa_exception_fp_ieee_inexact 0
		.amdhsa_exception_int_div_zero 0
	.end_amdhsa_kernel
	.section	.text._ZN2at6native14vol2col_kernelIfEEvlPKT_iiiiiiiiiiiiiiiiiiPS2_,"axG",@progbits,_ZN2at6native14vol2col_kernelIfEEvlPKT_iiiiiiiiiiiiiiiiiiPS2_,comdat
.Lfunc_end5:
	.size	_ZN2at6native14vol2col_kernelIfEEvlPKT_iiiiiiiiiiiiiiiiiiPS2_, .Lfunc_end5-_ZN2at6native14vol2col_kernelIfEEvlPKT_iiiiiiiiiiiiiiiiiiPS2_
                                        ; -- End function
	.set _ZN2at6native14vol2col_kernelIfEEvlPKT_iiiiiiiiiiiiiiiiiiPS2_.num_vgpr, 22
	.set _ZN2at6native14vol2col_kernelIfEEvlPKT_iiiiiiiiiiiiiiiiiiPS2_.num_agpr, 0
	.set _ZN2at6native14vol2col_kernelIfEEvlPKT_iiiiiiiiiiiiiiiiiiPS2_.numbered_sgpr, 64
	.set _ZN2at6native14vol2col_kernelIfEEvlPKT_iiiiiiiiiiiiiiiiiiPS2_.num_named_barrier, 0
	.set _ZN2at6native14vol2col_kernelIfEEvlPKT_iiiiiiiiiiiiiiiiiiPS2_.private_seg_size, 0
	.set _ZN2at6native14vol2col_kernelIfEEvlPKT_iiiiiiiiiiiiiiiiiiPS2_.uses_vcc, 1
	.set _ZN2at6native14vol2col_kernelIfEEvlPKT_iiiiiiiiiiiiiiiiiiPS2_.uses_flat_scratch, 0
	.set _ZN2at6native14vol2col_kernelIfEEvlPKT_iiiiiiiiiiiiiiiiiiPS2_.has_dyn_sized_stack, 0
	.set _ZN2at6native14vol2col_kernelIfEEvlPKT_iiiiiiiiiiiiiiiiiiPS2_.has_recursion, 0
	.set _ZN2at6native14vol2col_kernelIfEEvlPKT_iiiiiiiiiiiiiiiiiiPS2_.has_indirect_call, 0
	.section	.AMDGPU.csdata,"",@progbits
; Kernel info:
; codeLenInByte = 3376
; TotalNumSgprs: 68
; NumVgprs: 22
; ScratchSize: 0
; MemoryBound: 0
; FloatMode: 240
; IeeeMode: 1
; LDSByteSize: 0 bytes/workgroup (compile time only)
; SGPRBlocks: 8
; VGPRBlocks: 5
; NumSGPRsForWavesPerEU: 68
; NumVGPRsForWavesPerEU: 22
; Occupancy: 10
; WaveLimiterHint : 0
; COMPUTE_PGM_RSRC2:SCRATCH_EN: 0
; COMPUTE_PGM_RSRC2:USER_SGPR: 6
; COMPUTE_PGM_RSRC2:TRAP_HANDLER: 0
; COMPUTE_PGM_RSRC2:TGID_X_EN: 1
; COMPUTE_PGM_RSRC2:TGID_Y_EN: 0
; COMPUTE_PGM_RSRC2:TGID_Z_EN: 0
; COMPUTE_PGM_RSRC2:TIDIG_COMP_CNT: 0
	.section	.text._ZN2at6native14vol2col_kernelIN3c104HalfEEEvlPKT_iiiiiiiiiiiiiiiiiiPS4_,"axG",@progbits,_ZN2at6native14vol2col_kernelIN3c104HalfEEEvlPKT_iiiiiiiiiiiiiiiiiiPS4_,comdat
	.protected	_ZN2at6native14vol2col_kernelIN3c104HalfEEEvlPKT_iiiiiiiiiiiiiiiiiiPS4_ ; -- Begin function _ZN2at6native14vol2col_kernelIN3c104HalfEEEvlPKT_iiiiiiiiiiiiiiiiiiPS4_
	.globl	_ZN2at6native14vol2col_kernelIN3c104HalfEEEvlPKT_iiiiiiiiiiiiiiiiiiPS4_
	.p2align	8
	.type	_ZN2at6native14vol2col_kernelIN3c104HalfEEEvlPKT_iiiiiiiiiiiiiiiiiiPS4_,@function
_ZN2at6native14vol2col_kernelIN3c104HalfEEEvlPKT_iiiiiiiiiiiiiiiiiiPS4_: ; @_ZN2at6native14vol2col_kernelIN3c104HalfEEEvlPKT_iiiiiiiiiiiiiiiiiiPS4_
; %bb.0:
	s_load_dword s0, s[4:5], 0x6c
	s_load_dwordx4 s[24:27], s[4:5], 0x0
	s_add_u32 s28, s4, 0x60
	v_mov_b32_e32 v2, 0
	s_addc_u32 s29, s5, 0
	s_waitcnt lgkmcnt(0)
	s_and_b32 s36, s0, 0xffff
	v_mov_b32_e32 v1, v2
	v_mov_b32_e32 v3, s6
	v_mad_u64_u32 v[0:1], s[0:1], s36, v3, v[0:1]
	v_cmp_gt_i64_e32 vcc, s[24:25], v[0:1]
	s_and_saveexec_b64 s[0:1], vcc
	s_cbranch_execz .LBB6_26
; %bb.1:
	s_load_dwordx16 s[8:23], s[4:5], 0x10
	s_load_dwordx4 s[0:3], s[4:5], 0x50
	s_load_dword s37, s[28:29], 0x0
	v_mov_b32_e32 v4, s26
	v_mov_b32_e32 v5, s27
	s_waitcnt lgkmcnt(0)
	s_mul_i32 s6, s12, s11
	s_mul_i32 s4, s0, s23
	s_ashr_i32 s41, s0, 31
	s_mov_b32 s42, s0
	s_ashr_i32 s0, s13, 31
	s_mul_hi_i32 s5, s12, s11
	s_mul_i32 s0, s6, s0
	s_mul_hi_u32 s7, s6, s13
	s_add_i32 s0, s7, s0
	s_mul_i32 s5, s5, s13
	s_ashr_i32 s33, s1, 31
	s_ashr_i32 s43, s23, 31
	;; [unrolled: 1-line block ×6, first 2 shown]
	s_mov_b32 s50, s15
	s_ashr_i32 s51, s19, 31
	s_mov_b32 s52, s19
	s_ashr_i32 s53, s16, 31
	s_add_i32 s54, s0, s5
	s_ashr_i32 s7, s8, 31
	s_ashr_i32 s15, s9, 31
	;; [unrolled: 1-line block ×3, first 2 shown]
	s_cmp_gt_i32 s11, 0
	s_cselect_b64 s[28:29], -1, 0
	s_cmp_gt_i32 s12, 0
	s_mul_i32 s0, s4, s1
	s_cselect_b64 s[30:31], -1, 0
	s_cmp_gt_i32 s13, 0
	s_mov_b32 s40, s1
	s_cselect_b64 s[34:35], -1, 0
	s_ashr_i32 s1, s0, 31
	s_mul_i32 s57, s20, s10
	v_mov_b32_e32 v7, s3
	s_mov_b32 s46, s14
	s_mov_b32 s48, s18
	s_mul_i32 s55, s6, s13
	s_mov_b32 s6, s8
	s_mov_b32 s14, s9
	;; [unrolled: 1-line block ×3, first 2 shown]
	s_mul_i32 s56, s37, s36
	s_lshl_b64 s[36:37], s[0:1], 1
	s_mul_i32 s57, s57, s9
	s_mul_i32 s10, s21, s10
	v_mov_b32_e32 v6, s2
	s_mov_b64 s[8:9], 0
	s_branch .LBB6_3
.LBB6_2:                                ;   in Loop: Header=BB6_3 Depth=1
	v_add_co_u32_e32 v0, vcc, s56, v0
	v_addc_co_u32_e32 v1, vcc, 0, v1, vcc
	v_cmp_le_i64_e32 vcc, s[24:25], v[0:1]
	s_or_b64 s[8:9], vcc, s[8:9]
	s_andn2_b64 exec, exec, s[8:9]
	s_cbranch_execz .LBB6_26
.LBB6_3:                                ; =>This Loop Header: Depth=1
                                        ;     Child Loop BB6_18 Depth 2
                                        ;       Child Loop BB6_21 Depth 3
                                        ;         Child Loop BB6_24 Depth 4
	v_or_b32_e32 v3, s33, v1
	v_cmp_ne_u64_e32 vcc, 0, v[2:3]
                                        ; implicit-def: $vgpr8_vgpr9
	s_and_saveexec_b64 s[0:1], vcc
	s_xor_b64 s[2:3], exec, s[0:1]
	s_cbranch_execz .LBB6_5
; %bb.4:                                ;   in Loop: Header=BB6_3 Depth=1
	s_ashr_i32 s4, s33, 31
	s_add_u32 s0, s40, s4
	s_mov_b32 s5, s4
	s_addc_u32 s1, s33, s4
	s_xor_b64 s[26:27], s[0:1], s[4:5]
	v_cvt_f32_u32_e32 v3, s26
	v_cvt_f32_u32_e32 v8, s27
	s_sub_u32 s5, 0, s26
	s_subb_u32 s38, 0, s27
	v_mac_f32_e32 v3, 0x4f800000, v8
	v_rcp_f32_e32 v3, v3
	v_mul_f32_e32 v3, 0x5f7ffffc, v3
	v_mul_f32_e32 v8, 0x2f800000, v3
	v_trunc_f32_e32 v8, v8
	v_mac_f32_e32 v3, 0xcf800000, v8
	v_cvt_u32_f32_e32 v8, v8
	v_cvt_u32_f32_e32 v3, v3
	v_readfirstlane_b32 s39, v8
	v_readfirstlane_b32 s0, v3
	s_mul_i32 s1, s5, s39
	s_mul_hi_u32 s59, s5, s0
	s_mul_i32 s58, s38, s0
	s_add_i32 s1, s59, s1
	s_add_i32 s1, s1, s58
	s_mul_i32 s60, s5, s0
	s_mul_i32 s59, s0, s1
	s_mul_hi_u32 s61, s0, s60
	s_mul_hi_u32 s58, s0, s1
	s_add_u32 s59, s61, s59
	s_addc_u32 s58, 0, s58
	s_mul_hi_u32 s62, s39, s60
	s_mul_i32 s60, s39, s60
	s_add_u32 s59, s59, s60
	s_mul_hi_u32 s61, s39, s1
	s_addc_u32 s58, s58, s62
	s_addc_u32 s59, s61, 0
	s_mul_i32 s1, s39, s1
	s_add_u32 s1, s58, s1
	s_addc_u32 s58, 0, s59
	s_add_u32 s59, s0, s1
	s_cselect_b64 s[0:1], -1, 0
	s_cmp_lg_u64 s[0:1], 0
	s_addc_u32 s39, s39, s58
	s_mul_i32 s0, s5, s39
	s_mul_hi_u32 s1, s5, s59
	s_add_i32 s0, s1, s0
	s_mul_i32 s38, s38, s59
	s_add_i32 s0, s0, s38
	s_mul_i32 s5, s5, s59
	s_mul_hi_u32 s38, s39, s5
	s_mul_i32 s58, s39, s5
	s_mul_i32 s61, s59, s0
	s_mul_hi_u32 s5, s59, s5
	s_mul_hi_u32 s60, s59, s0
	s_add_u32 s5, s5, s61
	s_addc_u32 s60, 0, s60
	s_add_u32 s5, s5, s58
	s_mul_hi_u32 s1, s39, s0
	s_addc_u32 s5, s60, s38
	s_addc_u32 s1, s1, 0
	s_mul_i32 s0, s39, s0
	s_add_u32 s0, s5, s0
	s_addc_u32 s5, 0, s1
	s_add_u32 s38, s59, s0
	s_cselect_b64 s[0:1], -1, 0
	v_ashrrev_i32_e32 v3, 31, v1
	s_cmp_lg_u64 s[0:1], 0
	v_add_co_u32_e32 v8, vcc, v0, v3
	s_addc_u32 s5, s39, s5
	v_xor_b32_e32 v12, v8, v3
	v_mad_u64_u32 v[8:9], s[0:1], v12, s5, 0
	v_mul_hi_u32 v11, v12, s38
	v_addc_co_u32_e32 v10, vcc, v1, v3, vcc
	v_xor_b32_e32 v13, v10, v3
	v_add_co_u32_e32 v14, vcc, v11, v8
	v_addc_co_u32_e32 v15, vcc, 0, v9, vcc
	v_mad_u64_u32 v[8:9], s[0:1], v13, s38, 0
	v_mad_u64_u32 v[10:11], s[0:1], v13, s5, 0
	v_add_co_u32_e32 v8, vcc, v14, v8
	v_addc_co_u32_e32 v8, vcc, v15, v9, vcc
	v_addc_co_u32_e32 v9, vcc, 0, v11, vcc
	v_add_co_u32_e32 v10, vcc, v8, v10
	v_addc_co_u32_e32 v11, vcc, 0, v9, vcc
	v_mul_lo_u32 v14, s27, v10
	v_mul_lo_u32 v15, s26, v11
	v_mad_u64_u32 v[8:9], s[0:1], s26, v10, 0
	v_xor_b32_e32 v3, s4, v3
	v_add3_u32 v9, v9, v15, v14
	v_sub_u32_e32 v14, v13, v9
	v_mov_b32_e32 v15, s27
	v_sub_co_u32_e32 v8, vcc, v12, v8
	v_subb_co_u32_e64 v12, s[0:1], v14, v15, vcc
	v_subrev_co_u32_e64 v14, s[0:1], s26, v8
	v_subbrev_co_u32_e64 v12, s[0:1], 0, v12, s[0:1]
	v_cmp_le_u32_e64 s[0:1], s27, v12
	v_cndmask_b32_e64 v15, 0, -1, s[0:1]
	v_cmp_le_u32_e64 s[0:1], s26, v14
	v_cndmask_b32_e64 v14, 0, -1, s[0:1]
	v_cmp_eq_u32_e64 s[0:1], s27, v12
	v_cndmask_b32_e64 v12, v15, v14, s[0:1]
	v_add_co_u32_e64 v14, s[0:1], 2, v10
	v_subb_co_u32_e32 v9, vcc, v13, v9, vcc
	v_addc_co_u32_e64 v15, s[0:1], 0, v11, s[0:1]
	v_cmp_le_u32_e32 vcc, s27, v9
	v_add_co_u32_e64 v16, s[0:1], 1, v10
	v_cndmask_b32_e64 v13, 0, -1, vcc
	v_cmp_le_u32_e32 vcc, s26, v8
	v_addc_co_u32_e64 v17, s[0:1], 0, v11, s[0:1]
	v_cndmask_b32_e64 v8, 0, -1, vcc
	v_cmp_eq_u32_e32 vcc, s27, v9
	v_cmp_ne_u32_e64 s[0:1], 0, v12
	v_cndmask_b32_e32 v8, v13, v8, vcc
	v_cndmask_b32_e64 v12, v17, v15, s[0:1]
	v_cmp_ne_u32_e32 vcc, 0, v8
	v_cndmask_b32_e64 v9, v16, v14, s[0:1]
	v_cndmask_b32_e32 v8, v11, v12, vcc
	v_cndmask_b32_e32 v9, v10, v9, vcc
	v_xor_b32_e32 v10, v8, v3
	v_xor_b32_e32 v8, v9, v3
	v_sub_co_u32_e32 v8, vcc, v8, v3
	v_subb_co_u32_e32 v9, vcc, v10, v3, vcc
.LBB6_5:                                ;   in Loop: Header=BB6_3 Depth=1
	s_andn2_saveexec_b64 s[0:1], s[2:3]
	s_cbranch_execz .LBB6_7
; %bb.6:                                ;   in Loop: Header=BB6_3 Depth=1
	v_cvt_f32_u32_e32 v3, s40
	s_sub_i32 s2, 0, s40
	v_rcp_iflag_f32_e32 v3, v3
	v_mul_f32_e32 v3, 0x4f7ffffe, v3
	v_cvt_u32_f32_e32 v3, v3
	v_mul_lo_u32 v8, s2, v3
	v_mul_hi_u32 v8, v3, v8
	v_add_u32_e32 v3, v3, v8
	v_mul_hi_u32 v3, v0, v3
	v_mul_lo_u32 v8, v3, s40
	v_add_u32_e32 v9, 1, v3
	v_sub_u32_e32 v8, v0, v8
	v_subrev_u32_e32 v10, s40, v8
	v_cmp_le_u32_e32 vcc, s40, v8
	v_cndmask_b32_e32 v8, v8, v10, vcc
	v_cndmask_b32_e32 v3, v3, v9, vcc
	v_add_u32_e32 v9, 1, v3
	v_cmp_le_u32_e32 vcc, s40, v8
	v_cndmask_b32_e32 v8, v3, v9, vcc
	v_mov_b32_e32 v9, v2
.LBB6_7:                                ;   in Loop: Header=BB6_3 Depth=1
	s_or_b64 exec, exec, s[0:1]
	v_or_b32_e32 v3, s41, v9
	v_cmp_ne_u64_e32 vcc, 0, v[2:3]
                                        ; implicit-def: $vgpr10_vgpr11
	s_and_saveexec_b64 s[0:1], vcc
	s_xor_b64 s[2:3], exec, s[0:1]
	s_cbranch_execz .LBB6_9
; %bb.8:                                ;   in Loop: Header=BB6_3 Depth=1
	s_ashr_i32 s4, s41, 31
	s_add_u32 s0, s42, s4
	s_mov_b32 s5, s4
	s_addc_u32 s1, s41, s4
	s_xor_b64 s[26:27], s[0:1], s[4:5]
	v_cvt_f32_u32_e32 v3, s26
	v_cvt_f32_u32_e32 v10, s27
	s_sub_u32 s5, 0, s26
	s_subb_u32 s38, 0, s27
	v_mac_f32_e32 v3, 0x4f800000, v10
	v_rcp_f32_e32 v3, v3
	v_mul_f32_e32 v3, 0x5f7ffffc, v3
	v_mul_f32_e32 v10, 0x2f800000, v3
	v_trunc_f32_e32 v10, v10
	v_mac_f32_e32 v3, 0xcf800000, v10
	v_cvt_u32_f32_e32 v10, v10
	v_cvt_u32_f32_e32 v3, v3
	v_readfirstlane_b32 s39, v10
	v_readfirstlane_b32 s0, v3
	s_mul_i32 s1, s5, s39
	s_mul_hi_u32 s59, s5, s0
	s_mul_i32 s58, s38, s0
	s_add_i32 s1, s59, s1
	s_add_i32 s1, s1, s58
	s_mul_i32 s60, s5, s0
	s_mul_i32 s59, s0, s1
	s_mul_hi_u32 s61, s0, s60
	s_mul_hi_u32 s58, s0, s1
	s_add_u32 s59, s61, s59
	s_addc_u32 s58, 0, s58
	s_mul_hi_u32 s62, s39, s60
	s_mul_i32 s60, s39, s60
	s_add_u32 s59, s59, s60
	s_mul_hi_u32 s61, s39, s1
	s_addc_u32 s58, s58, s62
	s_addc_u32 s59, s61, 0
	s_mul_i32 s1, s39, s1
	s_add_u32 s1, s58, s1
	s_addc_u32 s58, 0, s59
	s_add_u32 s59, s0, s1
	s_cselect_b64 s[0:1], -1, 0
	s_cmp_lg_u64 s[0:1], 0
	s_addc_u32 s39, s39, s58
	s_mul_i32 s0, s5, s39
	s_mul_hi_u32 s1, s5, s59
	s_add_i32 s0, s1, s0
	s_mul_i32 s38, s38, s59
	s_add_i32 s0, s0, s38
	s_mul_i32 s5, s5, s59
	s_mul_hi_u32 s38, s39, s5
	s_mul_i32 s58, s39, s5
	s_mul_i32 s61, s59, s0
	s_mul_hi_u32 s5, s59, s5
	s_mul_hi_u32 s60, s59, s0
	s_add_u32 s5, s5, s61
	s_addc_u32 s60, 0, s60
	s_add_u32 s5, s5, s58
	s_mul_hi_u32 s1, s39, s0
	s_addc_u32 s5, s60, s38
	s_addc_u32 s1, s1, 0
	s_mul_i32 s0, s39, s0
	s_add_u32 s0, s5, s0
	s_addc_u32 s5, 0, s1
	s_add_u32 s38, s59, s0
	s_cselect_b64 s[0:1], -1, 0
	v_ashrrev_i32_e32 v3, 31, v9
	s_cmp_lg_u64 s[0:1], 0
	v_add_co_u32_e32 v10, vcc, v8, v3
	s_addc_u32 s5, s39, s5
	v_xor_b32_e32 v14, v10, v3
	v_mad_u64_u32 v[10:11], s[0:1], v14, s5, 0
	v_mul_hi_u32 v13, v14, s38
	v_addc_co_u32_e32 v12, vcc, v9, v3, vcc
	v_xor_b32_e32 v15, v12, v3
	v_add_co_u32_e32 v16, vcc, v13, v10
	v_addc_co_u32_e32 v17, vcc, 0, v11, vcc
	v_mad_u64_u32 v[10:11], s[0:1], v15, s38, 0
	v_mad_u64_u32 v[12:13], s[0:1], v15, s5, 0
	v_add_co_u32_e32 v10, vcc, v16, v10
	v_addc_co_u32_e32 v10, vcc, v17, v11, vcc
	v_addc_co_u32_e32 v11, vcc, 0, v13, vcc
	v_add_co_u32_e32 v12, vcc, v10, v12
	v_addc_co_u32_e32 v13, vcc, 0, v11, vcc
	v_mul_lo_u32 v16, s27, v12
	v_mul_lo_u32 v17, s26, v13
	v_mad_u64_u32 v[10:11], s[0:1], s26, v12, 0
	v_xor_b32_e32 v3, s4, v3
	v_add3_u32 v11, v11, v17, v16
	v_sub_u32_e32 v16, v15, v11
	v_mov_b32_e32 v17, s27
	v_sub_co_u32_e32 v10, vcc, v14, v10
	v_subb_co_u32_e64 v14, s[0:1], v16, v17, vcc
	v_subrev_co_u32_e64 v16, s[0:1], s26, v10
	v_subbrev_co_u32_e64 v14, s[0:1], 0, v14, s[0:1]
	v_cmp_le_u32_e64 s[0:1], s27, v14
	v_cndmask_b32_e64 v17, 0, -1, s[0:1]
	v_cmp_le_u32_e64 s[0:1], s26, v16
	v_cndmask_b32_e64 v16, 0, -1, s[0:1]
	v_cmp_eq_u32_e64 s[0:1], s27, v14
	v_cndmask_b32_e64 v14, v17, v16, s[0:1]
	v_add_co_u32_e64 v16, s[0:1], 2, v12
	v_subb_co_u32_e32 v11, vcc, v15, v11, vcc
	v_addc_co_u32_e64 v17, s[0:1], 0, v13, s[0:1]
	v_cmp_le_u32_e32 vcc, s27, v11
	v_add_co_u32_e64 v18, s[0:1], 1, v12
	v_cndmask_b32_e64 v15, 0, -1, vcc
	v_cmp_le_u32_e32 vcc, s26, v10
	v_addc_co_u32_e64 v19, s[0:1], 0, v13, s[0:1]
	v_cndmask_b32_e64 v10, 0, -1, vcc
	v_cmp_eq_u32_e32 vcc, s27, v11
	v_cmp_ne_u32_e64 s[0:1], 0, v14
	v_cndmask_b32_e32 v10, v15, v10, vcc
	v_cndmask_b32_e64 v14, v19, v17, s[0:1]
	v_cmp_ne_u32_e32 vcc, 0, v10
	v_cndmask_b32_e64 v11, v18, v16, s[0:1]
	v_cndmask_b32_e32 v10, v13, v14, vcc
	v_cndmask_b32_e32 v11, v12, v11, vcc
	v_xor_b32_e32 v12, v10, v3
	v_xor_b32_e32 v10, v11, v3
	v_sub_co_u32_e32 v10, vcc, v10, v3
	v_subb_co_u32_e32 v11, vcc, v12, v3, vcc
.LBB6_9:                                ;   in Loop: Header=BB6_3 Depth=1
	s_andn2_saveexec_b64 s[0:1], s[2:3]
	s_cbranch_execz .LBB6_11
; %bb.10:                               ;   in Loop: Header=BB6_3 Depth=1
	v_cvt_f32_u32_e32 v3, s42
	s_sub_i32 s2, 0, s42
	v_rcp_iflag_f32_e32 v3, v3
	v_mul_f32_e32 v3, 0x4f7ffffe, v3
	v_cvt_u32_f32_e32 v3, v3
	v_mul_lo_u32 v10, s2, v3
	v_mul_hi_u32 v10, v3, v10
	v_add_u32_e32 v3, v3, v10
	v_mul_hi_u32 v3, v8, v3
	v_mul_lo_u32 v10, v3, s42
	v_add_u32_e32 v11, 1, v3
	v_sub_u32_e32 v10, v8, v10
	v_subrev_u32_e32 v12, s42, v10
	v_cmp_le_u32_e32 vcc, s42, v10
	v_cndmask_b32_e32 v10, v10, v12, vcc
	v_cndmask_b32_e32 v3, v3, v11, vcc
	v_add_u32_e32 v11, 1, v3
	v_cmp_le_u32_e32 vcc, s42, v10
	v_cndmask_b32_e32 v10, v3, v11, vcc
	v_mov_b32_e32 v11, v2
.LBB6_11:                               ;   in Loop: Header=BB6_3 Depth=1
	s_or_b64 exec, exec, s[0:1]
	v_or_b32_e32 v3, s43, v11
	v_cmp_ne_u64_e32 vcc, 0, v[2:3]
                                        ; implicit-def: $vgpr12_vgpr13
	s_and_saveexec_b64 s[0:1], vcc
	s_xor_b64 s[2:3], exec, s[0:1]
	s_cbranch_execz .LBB6_13
; %bb.12:                               ;   in Loop: Header=BB6_3 Depth=1
	s_ashr_i32 s4, s43, 31
	s_add_u32 s0, s23, s4
	s_mov_b32 s5, s4
	s_addc_u32 s1, s43, s4
	s_xor_b64 s[26:27], s[0:1], s[4:5]
	v_cvt_f32_u32_e32 v3, s26
	v_cvt_f32_u32_e32 v12, s27
	s_sub_u32 s5, 0, s26
	s_subb_u32 s38, 0, s27
	v_mac_f32_e32 v3, 0x4f800000, v12
	v_rcp_f32_e32 v3, v3
	v_mul_f32_e32 v3, 0x5f7ffffc, v3
	v_mul_f32_e32 v12, 0x2f800000, v3
	v_trunc_f32_e32 v12, v12
	v_mac_f32_e32 v3, 0xcf800000, v12
	v_cvt_u32_f32_e32 v12, v12
	v_cvt_u32_f32_e32 v3, v3
	v_readfirstlane_b32 s39, v12
	v_readfirstlane_b32 s0, v3
	s_mul_i32 s1, s5, s39
	s_mul_hi_u32 s59, s5, s0
	s_mul_i32 s58, s38, s0
	s_add_i32 s1, s59, s1
	s_add_i32 s1, s1, s58
	s_mul_i32 s60, s5, s0
	s_mul_i32 s59, s0, s1
	s_mul_hi_u32 s61, s0, s60
	s_mul_hi_u32 s58, s0, s1
	s_add_u32 s59, s61, s59
	s_addc_u32 s58, 0, s58
	s_mul_hi_u32 s62, s39, s60
	s_mul_i32 s60, s39, s60
	s_add_u32 s59, s59, s60
	s_mul_hi_u32 s61, s39, s1
	s_addc_u32 s58, s58, s62
	s_addc_u32 s59, s61, 0
	s_mul_i32 s1, s39, s1
	s_add_u32 s1, s58, s1
	s_addc_u32 s58, 0, s59
	s_add_u32 s59, s0, s1
	s_cselect_b64 s[0:1], -1, 0
	s_cmp_lg_u64 s[0:1], 0
	s_addc_u32 s39, s39, s58
	s_mul_i32 s0, s5, s39
	s_mul_hi_u32 s1, s5, s59
	s_add_i32 s0, s1, s0
	s_mul_i32 s38, s38, s59
	s_add_i32 s0, s0, s38
	s_mul_i32 s5, s5, s59
	s_mul_hi_u32 s38, s39, s5
	s_mul_i32 s58, s39, s5
	s_mul_i32 s61, s59, s0
	s_mul_hi_u32 s5, s59, s5
	s_mul_hi_u32 s60, s59, s0
	s_add_u32 s5, s5, s61
	s_addc_u32 s60, 0, s60
	s_add_u32 s5, s5, s58
	s_mul_hi_u32 s1, s39, s0
	s_addc_u32 s5, s60, s38
	s_addc_u32 s1, s1, 0
	s_mul_i32 s0, s39, s0
	s_add_u32 s0, s5, s0
	s_addc_u32 s5, 0, s1
	s_add_u32 s38, s59, s0
	s_cselect_b64 s[0:1], -1, 0
	v_ashrrev_i32_e32 v3, 31, v11
	s_cmp_lg_u64 s[0:1], 0
	v_add_co_u32_e32 v12, vcc, v10, v3
	s_addc_u32 s5, s39, s5
	v_xor_b32_e32 v16, v12, v3
	v_mad_u64_u32 v[12:13], s[0:1], v16, s5, 0
	v_mul_hi_u32 v15, v16, s38
	v_addc_co_u32_e32 v14, vcc, v11, v3, vcc
	v_xor_b32_e32 v17, v14, v3
	v_add_co_u32_e32 v18, vcc, v15, v12
	v_addc_co_u32_e32 v19, vcc, 0, v13, vcc
	v_mad_u64_u32 v[12:13], s[0:1], v17, s38, 0
	v_mad_u64_u32 v[14:15], s[0:1], v17, s5, 0
	v_add_co_u32_e32 v12, vcc, v18, v12
	v_addc_co_u32_e32 v12, vcc, v19, v13, vcc
	v_addc_co_u32_e32 v13, vcc, 0, v15, vcc
	v_add_co_u32_e32 v14, vcc, v12, v14
	v_addc_co_u32_e32 v15, vcc, 0, v13, vcc
	v_mul_lo_u32 v18, s27, v14
	v_mul_lo_u32 v19, s26, v15
	v_mad_u64_u32 v[12:13], s[0:1], s26, v14, 0
	v_xor_b32_e32 v3, s4, v3
	v_add3_u32 v13, v13, v19, v18
	v_sub_u32_e32 v18, v17, v13
	v_mov_b32_e32 v19, s27
	v_sub_co_u32_e32 v12, vcc, v16, v12
	v_subb_co_u32_e64 v16, s[0:1], v18, v19, vcc
	v_subrev_co_u32_e64 v18, s[0:1], s26, v12
	v_subbrev_co_u32_e64 v16, s[0:1], 0, v16, s[0:1]
	v_cmp_le_u32_e64 s[0:1], s27, v16
	v_cndmask_b32_e64 v19, 0, -1, s[0:1]
	v_cmp_le_u32_e64 s[0:1], s26, v18
	v_cndmask_b32_e64 v18, 0, -1, s[0:1]
	v_cmp_eq_u32_e64 s[0:1], s27, v16
	v_cndmask_b32_e64 v16, v19, v18, s[0:1]
	v_add_co_u32_e64 v18, s[0:1], 2, v14
	v_subb_co_u32_e32 v13, vcc, v17, v13, vcc
	v_addc_co_u32_e64 v19, s[0:1], 0, v15, s[0:1]
	v_cmp_le_u32_e32 vcc, s27, v13
	v_add_co_u32_e64 v20, s[0:1], 1, v14
	v_cndmask_b32_e64 v17, 0, -1, vcc
	v_cmp_le_u32_e32 vcc, s26, v12
	v_addc_co_u32_e64 v21, s[0:1], 0, v15, s[0:1]
	v_cndmask_b32_e64 v12, 0, -1, vcc
	v_cmp_eq_u32_e32 vcc, s27, v13
	v_cmp_ne_u32_e64 s[0:1], 0, v16
	v_cndmask_b32_e32 v12, v17, v12, vcc
	v_cndmask_b32_e64 v16, v21, v19, s[0:1]
	v_cmp_ne_u32_e32 vcc, 0, v12
	v_cndmask_b32_e64 v13, v20, v18, s[0:1]
	v_cndmask_b32_e32 v12, v15, v16, vcc
	v_cndmask_b32_e32 v13, v14, v13, vcc
	v_xor_b32_e32 v14, v12, v3
	v_xor_b32_e32 v12, v13, v3
	v_sub_co_u32_e32 v12, vcc, v12, v3
	v_subb_co_u32_e32 v13, vcc, v14, v3, vcc
.LBB6_13:                               ;   in Loop: Header=BB6_3 Depth=1
	s_andn2_saveexec_b64 s[0:1], s[2:3]
	s_cbranch_execz .LBB6_15
; %bb.14:                               ;   in Loop: Header=BB6_3 Depth=1
	v_cvt_f32_u32_e32 v3, s23
	s_sub_i32 s2, 0, s23
	v_rcp_iflag_f32_e32 v3, v3
	v_mul_f32_e32 v3, 0x4f7ffffe, v3
	v_cvt_u32_f32_e32 v3, v3
	v_mul_lo_u32 v12, s2, v3
	v_mul_hi_u32 v12, v3, v12
	v_add_u32_e32 v3, v3, v12
	v_mul_hi_u32 v3, v10, v3
	v_mul_lo_u32 v12, v3, s23
	v_add_u32_e32 v13, 1, v3
	v_sub_u32_e32 v12, v10, v12
	v_subrev_u32_e32 v14, s23, v12
	v_cmp_le_u32_e32 vcc, s23, v12
	v_cndmask_b32_e32 v12, v12, v14, vcc
	v_cndmask_b32_e32 v3, v3, v13, vcc
	v_add_u32_e32 v13, 1, v3
	v_cmp_le_u32_e32 vcc, s23, v12
	v_cndmask_b32_e32 v12, v3, v13, vcc
	v_mov_b32_e32 v13, v2
.LBB6_15:                               ;   in Loop: Header=BB6_3 Depth=1
	s_or_b64 exec, exec, s[0:1]
	v_mul_lo_u32 v3, v11, s42
	v_mul_lo_u32 v16, v10, s41
	v_mad_u64_u32 v[14:15], s[0:1], v10, s42, 0
	v_mul_lo_u32 v19, v9, s40
	v_mul_lo_u32 v20, v8, s33
	v_add3_u32 v3, v15, v16, v3
	v_mad_u64_u32 v[15:16], s[0:1], v8, s40, 0
	v_sub_co_u32_e32 v17, vcc, v8, v14
	v_subb_co_u32_e32 v18, vcc, v9, v3, vcc
	v_add3_u32 v3, v16, v20, v19
	v_mul_lo_u32 v16, v13, s23
	v_mul_lo_u32 v19, v12, s43
	v_mad_u64_u32 v[8:9], s[0:1], v12, s23, 0
	v_sub_co_u32_e32 v14, vcc, v0, v15
	v_subb_co_u32_e32 v15, vcc, v1, v3, vcc
	v_add3_u32 v3, v9, v19, v16
	v_sub_co_u32_e32 v9, vcc, v10, v8
	v_subb_co_u32_e32 v10, vcc, v11, v3, vcc
	v_mul_lo_u32 v11, v10, s17
	v_mul_lo_u32 v16, v9, s44
	v_mad_u64_u32 v[19:20], s[0:1], v9, s17, 0
	v_mul_lo_u32 v3, v3, s55
	v_mul_lo_u32 v21, v17, s47
	v_add3_u32 v16, v20, v16, v11
	v_mad_u64_u32 v[10:11], s[0:1], v8, s55, v[9:10]
	v_mul_lo_u32 v20, v8, s54
	v_mov_b32_e32 v9, s45
	v_subrev_co_u32_e32 v8, vcc, s46, v19
	v_add3_u32 v3, v3, v11, v20
	v_mul_lo_u32 v20, v10, s41
	v_mad_u64_u32 v[10:11], s[0:1], v10, s42, v[17:18]
	v_mul_lo_u32 v3, v3, s42
	v_subb_co_u32_e32 v9, vcc, v16, v9, vcc
	v_mul_lo_u32 v19, v18, s48
	v_mad_u64_u32 v[16:17], s[0:1], v17, s48, 0
	v_add3_u32 v3, v3, v11, v20
	v_mul_lo_u32 v3, v3, s40
	v_add3_u32 v19, v17, v21, v19
	v_mul_lo_u32 v20, v10, s33
	v_mad_u64_u32 v[17:18], s[0:1], v10, s40, 0
	v_mov_b32_e32 v21, s49
	v_subrev_co_u32_e32 v10, vcc, s50, v16
	v_add3_u32 v18, v18, v20, v3
	v_lshlrev_b64 v[16:17], 1, v[17:18]
	v_subb_co_u32_e32 v11, vcc, v19, v21, vcc
	v_add_co_u32_e32 v3, vcc, v6, v16
	v_addc_co_u32_e32 v18, vcc, v7, v17, vcc
	v_mul_lo_u32 v16, v12, s7
	v_mul_lo_u32 v17, v13, s6
	v_mad_u64_u32 v[12:13], s[0:1], v12, s6, v[8:9]
	v_mul_lo_u32 v19, v15, s52
	v_mul_lo_u32 v21, v14, s51
	v_mad_u64_u32 v[6:7], s[0:1], v14, s52, 0
	v_add3_u32 v13, v17, v13, v16
	v_mul_lo_u32 v20, v12, s15
	v_add3_u32 v7, v7, v21, v19
	v_mad_u64_u32 v[16:17], s[0:1], v12, s14, v[10:11]
	v_mul_lo_u32 v21, v13, s14
	v_mov_b32_e32 v19, s53
	v_subrev_co_u32_e32 v12, vcc, s16, v6
	v_subb_co_u32_e32 v13, vcc, v7, v19, vcc
	v_lshlrev_b64 v[6:7], 1, v[14:15]
	v_add3_u32 v14, v21, v17, v20
	v_mul_lo_u32 v17, v16, s19
	v_mul_lo_u32 v19, v14, s18
	v_mad_u64_u32 v[14:15], s[0:1], v16, s18, 0
	v_add_co_u32_e32 v6, vcc, v3, v6
	v_add3_u32 v15, v15, v17, v19
	v_lshlrev_b64 v[14:15], 1, v[14:15]
	v_addc_co_u32_e32 v7, vcc, v18, v7, vcc
	v_add_co_u32_e32 v3, vcc, v4, v14
	v_addc_co_u32_e32 v14, vcc, v5, v15, vcc
	v_lshlrev_b64 v[4:5], 1, v[12:13]
	s_andn2_b64 vcc, exec, s[28:29]
	v_add_co_u32_e64 v4, s[0:1], v3, v4
	v_addc_co_u32_e64 v5, s[0:1], v14, v5, s[0:1]
	s_cbranch_vccnz .LBB6_2
; %bb.16:                               ;   in Loop: Header=BB6_3 Depth=1
	s_mov_b32 s58, 0
	s_mov_b32 s59, 0
	s_branch .LBB6_18
.LBB6_17:                               ;   in Loop: Header=BB6_18 Depth=2
	s_add_i32 s59, s59, 1
	s_add_i32 s58, s58, s57
	s_cmp_eq_u32 s59, s11
	s_cbranch_scc1 .LBB6_2
.LBB6_18:                               ;   Parent Loop BB6_3 Depth=1
                                        ; =>  This Loop Header: Depth=2
                                        ;       Child Loop BB6_21 Depth 3
                                        ;         Child Loop BB6_24 Depth 4
	s_andn2_b64 vcc, exec, s[30:31]
	s_cbranch_vccnz .LBB6_17
; %bb.19:                               ;   in Loop: Header=BB6_18 Depth=2
	s_mul_i32 s0, s59, s20
	s_ashr_i32 s1, s0, 31
	v_mov_b32_e32 v3, s1
	v_add_co_u32_e32 v14, vcc, s0, v8
	v_addc_co_u32_e32 v15, vcc, v9, v3, vcc
	v_cmp_lt_i64_e64 s[0:1], -1, v[14:15]
	v_cmp_gt_i64_e64 s[2:3], s[6:7], v[14:15]
	s_mov_b32 s60, 0
	s_mov_b32 s61, s58
	s_branch .LBB6_21
.LBB6_20:                               ;   in Loop: Header=BB6_21 Depth=3
	s_add_i32 s60, s60, 1
	s_add_i32 s61, s61, s10
	s_cmp_eq_u32 s60, s12
	s_cbranch_scc1 .LBB6_17
.LBB6_21:                               ;   Parent Loop BB6_3 Depth=1
                                        ;     Parent Loop BB6_18 Depth=2
                                        ; =>    This Loop Header: Depth=3
                                        ;         Child Loop BB6_24 Depth 4
	s_andn2_b64 vcc, exec, s[34:35]
	s_cbranch_vccnz .LBB6_20
; %bb.22:                               ;   in Loop: Header=BB6_21 Depth=3
	s_mul_i32 s4, s60, s21
	s_ashr_i32 s5, s4, 31
	v_mov_b32_e32 v3, s5
	v_add_co_u32_e32 v14, vcc, s4, v10
	v_addc_co_u32_e32 v15, vcc, v11, v3, vcc
	v_cmp_lt_i64_e32 vcc, -1, v[14:15]
	s_mov_b32 s62, 0
	s_and_b64 s[26:27], s[0:1], vcc
	v_cmp_gt_i64_e32 vcc, s[14:15], v[14:15]
	s_mov_b32 s63, s13
	s_branch .LBB6_24
.LBB6_23:                               ;   in Loop: Header=BB6_24 Depth=4
	s_or_b64 exec, exec, s[38:39]
	s_waitcnt vmcnt(0)
	global_store_short v[6:7], v3, off
	v_mov_b32_e32 v3, s37
	s_add_i32 s63, s63, -1
	s_add_i32 s62, s62, s22
	v_add_co_u32_e64 v6, s[4:5], s36, v6
	s_cmp_eq_u32 s63, 0
	v_addc_co_u32_e64 v7, s[4:5], v7, v3, s[4:5]
	s_cbranch_scc1 .LBB6_20
.LBB6_24:                               ;   Parent Loop BB6_3 Depth=1
                                        ;     Parent Loop BB6_18 Depth=2
                                        ;       Parent Loop BB6_21 Depth=3
                                        ; =>      This Inner Loop Header: Depth=4
	s_ashr_i32 s4, s62, 31
	v_mov_b32_e32 v3, s4
	v_add_co_u32_e64 v14, s[4:5], s62, v12
	v_addc_co_u32_e64 v15, s[4:5], v13, v3, s[4:5]
	v_cmp_lt_i64_e64 s[4:5], -1, v[14:15]
	v_mov_b32_e32 v3, 0
	s_and_b64 s[4:5], s[26:27], s[4:5]
	s_and_b64 s[38:39], s[2:3], s[4:5]
	v_cmp_gt_i64_e64 s[4:5], s[18:19], v[14:15]
	s_and_b64 s[38:39], s[38:39], vcc
	s_and_b64 s[4:5], s[38:39], s[4:5]
	s_and_saveexec_b64 s[38:39], s[4:5]
	s_cbranch_execz .LBB6_23
; %bb.25:                               ;   in Loop: Header=BB6_24 Depth=4
	s_add_i32 s4, s61, s62
	s_ashr_i32 s5, s4, 31
	s_lshl_b64 s[4:5], s[4:5], 1
	v_mov_b32_e32 v3, s5
	v_add_co_u32_e64 v14, s[4:5], s4, v4
	v_addc_co_u32_e64 v15, s[4:5], v5, v3, s[4:5]
	global_load_ushort v3, v[14:15], off
	s_branch .LBB6_23
.LBB6_26:
	s_endpgm
	.section	.rodata,"a",@progbits
	.p2align	6, 0x0
	.amdhsa_kernel _ZN2at6native14vol2col_kernelIN3c104HalfEEEvlPKT_iiiiiiiiiiiiiiiiiiPS4_
		.amdhsa_group_segment_fixed_size 0
		.amdhsa_private_segment_fixed_size 0
		.amdhsa_kernarg_size 352
		.amdhsa_user_sgpr_count 6
		.amdhsa_user_sgpr_private_segment_buffer 1
		.amdhsa_user_sgpr_dispatch_ptr 0
		.amdhsa_user_sgpr_queue_ptr 0
		.amdhsa_user_sgpr_kernarg_segment_ptr 1
		.amdhsa_user_sgpr_dispatch_id 0
		.amdhsa_user_sgpr_flat_scratch_init 0
		.amdhsa_user_sgpr_private_segment_size 0
		.amdhsa_uses_dynamic_stack 0
		.amdhsa_system_sgpr_private_segment_wavefront_offset 0
		.amdhsa_system_sgpr_workgroup_id_x 1
		.amdhsa_system_sgpr_workgroup_id_y 0
		.amdhsa_system_sgpr_workgroup_id_z 0
		.amdhsa_system_sgpr_workgroup_info 0
		.amdhsa_system_vgpr_workitem_id 0
		.amdhsa_next_free_vgpr 22
		.amdhsa_next_free_sgpr 64
		.amdhsa_reserve_vcc 1
		.amdhsa_reserve_flat_scratch 0
		.amdhsa_float_round_mode_32 0
		.amdhsa_float_round_mode_16_64 0
		.amdhsa_float_denorm_mode_32 3
		.amdhsa_float_denorm_mode_16_64 3
		.amdhsa_dx10_clamp 1
		.amdhsa_ieee_mode 1
		.amdhsa_fp16_overflow 0
		.amdhsa_exception_fp_ieee_invalid_op 0
		.amdhsa_exception_fp_denorm_src 0
		.amdhsa_exception_fp_ieee_div_zero 0
		.amdhsa_exception_fp_ieee_overflow 0
		.amdhsa_exception_fp_ieee_underflow 0
		.amdhsa_exception_fp_ieee_inexact 0
		.amdhsa_exception_int_div_zero 0
	.end_amdhsa_kernel
	.section	.text._ZN2at6native14vol2col_kernelIN3c104HalfEEEvlPKT_iiiiiiiiiiiiiiiiiiPS4_,"axG",@progbits,_ZN2at6native14vol2col_kernelIN3c104HalfEEEvlPKT_iiiiiiiiiiiiiiiiiiPS4_,comdat
.Lfunc_end6:
	.size	_ZN2at6native14vol2col_kernelIN3c104HalfEEEvlPKT_iiiiiiiiiiiiiiiiiiPS4_, .Lfunc_end6-_ZN2at6native14vol2col_kernelIN3c104HalfEEEvlPKT_iiiiiiiiiiiiiiiiiiPS4_
                                        ; -- End function
	.set _ZN2at6native14vol2col_kernelIN3c104HalfEEEvlPKT_iiiiiiiiiiiiiiiiiiPS4_.num_vgpr, 22
	.set _ZN2at6native14vol2col_kernelIN3c104HalfEEEvlPKT_iiiiiiiiiiiiiiiiiiPS4_.num_agpr, 0
	.set _ZN2at6native14vol2col_kernelIN3c104HalfEEEvlPKT_iiiiiiiiiiiiiiiiiiPS4_.numbered_sgpr, 64
	.set _ZN2at6native14vol2col_kernelIN3c104HalfEEEvlPKT_iiiiiiiiiiiiiiiiiiPS4_.num_named_barrier, 0
	.set _ZN2at6native14vol2col_kernelIN3c104HalfEEEvlPKT_iiiiiiiiiiiiiiiiiiPS4_.private_seg_size, 0
	.set _ZN2at6native14vol2col_kernelIN3c104HalfEEEvlPKT_iiiiiiiiiiiiiiiiiiPS4_.uses_vcc, 1
	.set _ZN2at6native14vol2col_kernelIN3c104HalfEEEvlPKT_iiiiiiiiiiiiiiiiiiPS4_.uses_flat_scratch, 0
	.set _ZN2at6native14vol2col_kernelIN3c104HalfEEEvlPKT_iiiiiiiiiiiiiiiiiiPS4_.has_dyn_sized_stack, 0
	.set _ZN2at6native14vol2col_kernelIN3c104HalfEEEvlPKT_iiiiiiiiiiiiiiiiiiPS4_.has_recursion, 0
	.set _ZN2at6native14vol2col_kernelIN3c104HalfEEEvlPKT_iiiiiiiiiiiiiiiiiiPS4_.has_indirect_call, 0
	.section	.AMDGPU.csdata,"",@progbits
; Kernel info:
; codeLenInByte = 3376
; TotalNumSgprs: 68
; NumVgprs: 22
; ScratchSize: 0
; MemoryBound: 0
; FloatMode: 240
; IeeeMode: 1
; LDSByteSize: 0 bytes/workgroup (compile time only)
; SGPRBlocks: 8
; VGPRBlocks: 5
; NumSGPRsForWavesPerEU: 68
; NumVGPRsForWavesPerEU: 22
; Occupancy: 10
; WaveLimiterHint : 0
; COMPUTE_PGM_RSRC2:SCRATCH_EN: 0
; COMPUTE_PGM_RSRC2:USER_SGPR: 6
; COMPUTE_PGM_RSRC2:TRAP_HANDLER: 0
; COMPUTE_PGM_RSRC2:TGID_X_EN: 1
; COMPUTE_PGM_RSRC2:TGID_Y_EN: 0
; COMPUTE_PGM_RSRC2:TGID_Z_EN: 0
; COMPUTE_PGM_RSRC2:TIDIG_COMP_CNT: 0
	.section	.text._ZN2at6native14vol2col_kernelIN3c108BFloat16EEEvlPKT_iiiiiiiiiiiiiiiiiiPS4_,"axG",@progbits,_ZN2at6native14vol2col_kernelIN3c108BFloat16EEEvlPKT_iiiiiiiiiiiiiiiiiiPS4_,comdat
	.protected	_ZN2at6native14vol2col_kernelIN3c108BFloat16EEEvlPKT_iiiiiiiiiiiiiiiiiiPS4_ ; -- Begin function _ZN2at6native14vol2col_kernelIN3c108BFloat16EEEvlPKT_iiiiiiiiiiiiiiiiiiPS4_
	.globl	_ZN2at6native14vol2col_kernelIN3c108BFloat16EEEvlPKT_iiiiiiiiiiiiiiiiiiPS4_
	.p2align	8
	.type	_ZN2at6native14vol2col_kernelIN3c108BFloat16EEEvlPKT_iiiiiiiiiiiiiiiiiiPS4_,@function
_ZN2at6native14vol2col_kernelIN3c108BFloat16EEEvlPKT_iiiiiiiiiiiiiiiiiiPS4_: ; @_ZN2at6native14vol2col_kernelIN3c108BFloat16EEEvlPKT_iiiiiiiiiiiiiiiiiiPS4_
; %bb.0:
	s_load_dword s0, s[4:5], 0x6c
	s_load_dwordx4 s[24:27], s[4:5], 0x0
	s_add_u32 s28, s4, 0x60
	v_mov_b32_e32 v2, 0
	s_addc_u32 s29, s5, 0
	s_waitcnt lgkmcnt(0)
	s_and_b32 s36, s0, 0xffff
	v_mov_b32_e32 v1, v2
	v_mov_b32_e32 v3, s6
	v_mad_u64_u32 v[0:1], s[0:1], s36, v3, v[0:1]
	v_cmp_gt_i64_e32 vcc, s[24:25], v[0:1]
	s_and_saveexec_b64 s[0:1], vcc
	s_cbranch_execz .LBB7_26
; %bb.1:
	s_load_dwordx16 s[8:23], s[4:5], 0x10
	s_load_dwordx4 s[0:3], s[4:5], 0x50
	s_load_dword s37, s[28:29], 0x0
	v_mov_b32_e32 v4, s26
	v_mov_b32_e32 v5, s27
	s_waitcnt lgkmcnt(0)
	s_mul_i32 s6, s12, s11
	s_mul_i32 s4, s0, s23
	s_ashr_i32 s41, s0, 31
	s_mov_b32 s42, s0
	s_ashr_i32 s0, s13, 31
	s_mul_hi_i32 s5, s12, s11
	s_mul_i32 s0, s6, s0
	s_mul_hi_u32 s7, s6, s13
	s_add_i32 s0, s7, s0
	s_mul_i32 s5, s5, s13
	s_ashr_i32 s33, s1, 31
	s_ashr_i32 s43, s23, 31
	;; [unrolled: 1-line block ×6, first 2 shown]
	s_mov_b32 s50, s15
	s_ashr_i32 s51, s19, 31
	s_mov_b32 s52, s19
	s_ashr_i32 s53, s16, 31
	s_add_i32 s54, s0, s5
	s_ashr_i32 s7, s8, 31
	s_ashr_i32 s15, s9, 31
	;; [unrolled: 1-line block ×3, first 2 shown]
	s_cmp_gt_i32 s11, 0
	s_cselect_b64 s[28:29], -1, 0
	s_cmp_gt_i32 s12, 0
	s_mul_i32 s0, s4, s1
	s_cselect_b64 s[30:31], -1, 0
	s_cmp_gt_i32 s13, 0
	s_mov_b32 s40, s1
	s_cselect_b64 s[34:35], -1, 0
	s_ashr_i32 s1, s0, 31
	s_mul_i32 s57, s20, s10
	v_mov_b32_e32 v7, s3
	s_mov_b32 s46, s14
	s_mov_b32 s48, s18
	s_mul_i32 s55, s6, s13
	s_mov_b32 s6, s8
	s_mov_b32 s14, s9
	s_mov_b32 s18, s10
	s_mul_i32 s56, s37, s36
	s_lshl_b64 s[36:37], s[0:1], 1
	s_mul_i32 s57, s57, s9
	s_mul_i32 s10, s21, s10
	v_mov_b32_e32 v6, s2
	s_mov_b64 s[8:9], 0
	s_branch .LBB7_3
.LBB7_2:                                ;   in Loop: Header=BB7_3 Depth=1
	v_add_co_u32_e32 v0, vcc, s56, v0
	v_addc_co_u32_e32 v1, vcc, 0, v1, vcc
	v_cmp_le_i64_e32 vcc, s[24:25], v[0:1]
	s_or_b64 s[8:9], vcc, s[8:9]
	s_andn2_b64 exec, exec, s[8:9]
	s_cbranch_execz .LBB7_26
.LBB7_3:                                ; =>This Loop Header: Depth=1
                                        ;     Child Loop BB7_18 Depth 2
                                        ;       Child Loop BB7_21 Depth 3
                                        ;         Child Loop BB7_24 Depth 4
	v_or_b32_e32 v3, s33, v1
	v_cmp_ne_u64_e32 vcc, 0, v[2:3]
                                        ; implicit-def: $vgpr8_vgpr9
	s_and_saveexec_b64 s[0:1], vcc
	s_xor_b64 s[2:3], exec, s[0:1]
	s_cbranch_execz .LBB7_5
; %bb.4:                                ;   in Loop: Header=BB7_3 Depth=1
	s_ashr_i32 s4, s33, 31
	s_add_u32 s0, s40, s4
	s_mov_b32 s5, s4
	s_addc_u32 s1, s33, s4
	s_xor_b64 s[26:27], s[0:1], s[4:5]
	v_cvt_f32_u32_e32 v3, s26
	v_cvt_f32_u32_e32 v8, s27
	s_sub_u32 s5, 0, s26
	s_subb_u32 s38, 0, s27
	v_mac_f32_e32 v3, 0x4f800000, v8
	v_rcp_f32_e32 v3, v3
	v_mul_f32_e32 v3, 0x5f7ffffc, v3
	v_mul_f32_e32 v8, 0x2f800000, v3
	v_trunc_f32_e32 v8, v8
	v_mac_f32_e32 v3, 0xcf800000, v8
	v_cvt_u32_f32_e32 v8, v8
	v_cvt_u32_f32_e32 v3, v3
	v_readfirstlane_b32 s39, v8
	v_readfirstlane_b32 s0, v3
	s_mul_i32 s1, s5, s39
	s_mul_hi_u32 s59, s5, s0
	s_mul_i32 s58, s38, s0
	s_add_i32 s1, s59, s1
	s_add_i32 s1, s1, s58
	s_mul_i32 s60, s5, s0
	s_mul_i32 s59, s0, s1
	s_mul_hi_u32 s61, s0, s60
	s_mul_hi_u32 s58, s0, s1
	s_add_u32 s59, s61, s59
	s_addc_u32 s58, 0, s58
	s_mul_hi_u32 s62, s39, s60
	s_mul_i32 s60, s39, s60
	s_add_u32 s59, s59, s60
	s_mul_hi_u32 s61, s39, s1
	s_addc_u32 s58, s58, s62
	s_addc_u32 s59, s61, 0
	s_mul_i32 s1, s39, s1
	s_add_u32 s1, s58, s1
	s_addc_u32 s58, 0, s59
	s_add_u32 s59, s0, s1
	s_cselect_b64 s[0:1], -1, 0
	s_cmp_lg_u64 s[0:1], 0
	s_addc_u32 s39, s39, s58
	s_mul_i32 s0, s5, s39
	s_mul_hi_u32 s1, s5, s59
	s_add_i32 s0, s1, s0
	s_mul_i32 s38, s38, s59
	s_add_i32 s0, s0, s38
	s_mul_i32 s5, s5, s59
	s_mul_hi_u32 s38, s39, s5
	s_mul_i32 s58, s39, s5
	s_mul_i32 s61, s59, s0
	s_mul_hi_u32 s5, s59, s5
	s_mul_hi_u32 s60, s59, s0
	s_add_u32 s5, s5, s61
	s_addc_u32 s60, 0, s60
	s_add_u32 s5, s5, s58
	s_mul_hi_u32 s1, s39, s0
	s_addc_u32 s5, s60, s38
	s_addc_u32 s1, s1, 0
	s_mul_i32 s0, s39, s0
	s_add_u32 s0, s5, s0
	s_addc_u32 s5, 0, s1
	s_add_u32 s38, s59, s0
	s_cselect_b64 s[0:1], -1, 0
	v_ashrrev_i32_e32 v3, 31, v1
	s_cmp_lg_u64 s[0:1], 0
	v_add_co_u32_e32 v8, vcc, v0, v3
	s_addc_u32 s5, s39, s5
	v_xor_b32_e32 v12, v8, v3
	v_mad_u64_u32 v[8:9], s[0:1], v12, s5, 0
	v_mul_hi_u32 v11, v12, s38
	v_addc_co_u32_e32 v10, vcc, v1, v3, vcc
	v_xor_b32_e32 v13, v10, v3
	v_add_co_u32_e32 v14, vcc, v11, v8
	v_addc_co_u32_e32 v15, vcc, 0, v9, vcc
	v_mad_u64_u32 v[8:9], s[0:1], v13, s38, 0
	v_mad_u64_u32 v[10:11], s[0:1], v13, s5, 0
	v_add_co_u32_e32 v8, vcc, v14, v8
	v_addc_co_u32_e32 v8, vcc, v15, v9, vcc
	v_addc_co_u32_e32 v9, vcc, 0, v11, vcc
	v_add_co_u32_e32 v10, vcc, v8, v10
	v_addc_co_u32_e32 v11, vcc, 0, v9, vcc
	v_mul_lo_u32 v14, s27, v10
	v_mul_lo_u32 v15, s26, v11
	v_mad_u64_u32 v[8:9], s[0:1], s26, v10, 0
	v_xor_b32_e32 v3, s4, v3
	v_add3_u32 v9, v9, v15, v14
	v_sub_u32_e32 v14, v13, v9
	v_mov_b32_e32 v15, s27
	v_sub_co_u32_e32 v8, vcc, v12, v8
	v_subb_co_u32_e64 v12, s[0:1], v14, v15, vcc
	v_subrev_co_u32_e64 v14, s[0:1], s26, v8
	v_subbrev_co_u32_e64 v12, s[0:1], 0, v12, s[0:1]
	v_cmp_le_u32_e64 s[0:1], s27, v12
	v_cndmask_b32_e64 v15, 0, -1, s[0:1]
	v_cmp_le_u32_e64 s[0:1], s26, v14
	v_cndmask_b32_e64 v14, 0, -1, s[0:1]
	v_cmp_eq_u32_e64 s[0:1], s27, v12
	v_cndmask_b32_e64 v12, v15, v14, s[0:1]
	v_add_co_u32_e64 v14, s[0:1], 2, v10
	v_subb_co_u32_e32 v9, vcc, v13, v9, vcc
	v_addc_co_u32_e64 v15, s[0:1], 0, v11, s[0:1]
	v_cmp_le_u32_e32 vcc, s27, v9
	v_add_co_u32_e64 v16, s[0:1], 1, v10
	v_cndmask_b32_e64 v13, 0, -1, vcc
	v_cmp_le_u32_e32 vcc, s26, v8
	v_addc_co_u32_e64 v17, s[0:1], 0, v11, s[0:1]
	v_cndmask_b32_e64 v8, 0, -1, vcc
	v_cmp_eq_u32_e32 vcc, s27, v9
	v_cmp_ne_u32_e64 s[0:1], 0, v12
	v_cndmask_b32_e32 v8, v13, v8, vcc
	v_cndmask_b32_e64 v12, v17, v15, s[0:1]
	v_cmp_ne_u32_e32 vcc, 0, v8
	v_cndmask_b32_e64 v9, v16, v14, s[0:1]
	v_cndmask_b32_e32 v8, v11, v12, vcc
	v_cndmask_b32_e32 v9, v10, v9, vcc
	v_xor_b32_e32 v10, v8, v3
	v_xor_b32_e32 v8, v9, v3
	v_sub_co_u32_e32 v8, vcc, v8, v3
	v_subb_co_u32_e32 v9, vcc, v10, v3, vcc
.LBB7_5:                                ;   in Loop: Header=BB7_3 Depth=1
	s_andn2_saveexec_b64 s[0:1], s[2:3]
	s_cbranch_execz .LBB7_7
; %bb.6:                                ;   in Loop: Header=BB7_3 Depth=1
	v_cvt_f32_u32_e32 v3, s40
	s_sub_i32 s2, 0, s40
	v_rcp_iflag_f32_e32 v3, v3
	v_mul_f32_e32 v3, 0x4f7ffffe, v3
	v_cvt_u32_f32_e32 v3, v3
	v_mul_lo_u32 v8, s2, v3
	v_mul_hi_u32 v8, v3, v8
	v_add_u32_e32 v3, v3, v8
	v_mul_hi_u32 v3, v0, v3
	v_mul_lo_u32 v8, v3, s40
	v_add_u32_e32 v9, 1, v3
	v_sub_u32_e32 v8, v0, v8
	v_subrev_u32_e32 v10, s40, v8
	v_cmp_le_u32_e32 vcc, s40, v8
	v_cndmask_b32_e32 v8, v8, v10, vcc
	v_cndmask_b32_e32 v3, v3, v9, vcc
	v_add_u32_e32 v9, 1, v3
	v_cmp_le_u32_e32 vcc, s40, v8
	v_cndmask_b32_e32 v8, v3, v9, vcc
	v_mov_b32_e32 v9, v2
.LBB7_7:                                ;   in Loop: Header=BB7_3 Depth=1
	s_or_b64 exec, exec, s[0:1]
	v_or_b32_e32 v3, s41, v9
	v_cmp_ne_u64_e32 vcc, 0, v[2:3]
                                        ; implicit-def: $vgpr10_vgpr11
	s_and_saveexec_b64 s[0:1], vcc
	s_xor_b64 s[2:3], exec, s[0:1]
	s_cbranch_execz .LBB7_9
; %bb.8:                                ;   in Loop: Header=BB7_3 Depth=1
	s_ashr_i32 s4, s41, 31
	s_add_u32 s0, s42, s4
	s_mov_b32 s5, s4
	s_addc_u32 s1, s41, s4
	s_xor_b64 s[26:27], s[0:1], s[4:5]
	v_cvt_f32_u32_e32 v3, s26
	v_cvt_f32_u32_e32 v10, s27
	s_sub_u32 s5, 0, s26
	s_subb_u32 s38, 0, s27
	v_mac_f32_e32 v3, 0x4f800000, v10
	v_rcp_f32_e32 v3, v3
	v_mul_f32_e32 v3, 0x5f7ffffc, v3
	v_mul_f32_e32 v10, 0x2f800000, v3
	v_trunc_f32_e32 v10, v10
	v_mac_f32_e32 v3, 0xcf800000, v10
	v_cvt_u32_f32_e32 v10, v10
	v_cvt_u32_f32_e32 v3, v3
	v_readfirstlane_b32 s39, v10
	v_readfirstlane_b32 s0, v3
	s_mul_i32 s1, s5, s39
	s_mul_hi_u32 s59, s5, s0
	s_mul_i32 s58, s38, s0
	s_add_i32 s1, s59, s1
	s_add_i32 s1, s1, s58
	s_mul_i32 s60, s5, s0
	s_mul_i32 s59, s0, s1
	s_mul_hi_u32 s61, s0, s60
	s_mul_hi_u32 s58, s0, s1
	s_add_u32 s59, s61, s59
	s_addc_u32 s58, 0, s58
	s_mul_hi_u32 s62, s39, s60
	s_mul_i32 s60, s39, s60
	s_add_u32 s59, s59, s60
	s_mul_hi_u32 s61, s39, s1
	s_addc_u32 s58, s58, s62
	s_addc_u32 s59, s61, 0
	s_mul_i32 s1, s39, s1
	s_add_u32 s1, s58, s1
	s_addc_u32 s58, 0, s59
	s_add_u32 s59, s0, s1
	s_cselect_b64 s[0:1], -1, 0
	s_cmp_lg_u64 s[0:1], 0
	s_addc_u32 s39, s39, s58
	s_mul_i32 s0, s5, s39
	s_mul_hi_u32 s1, s5, s59
	s_add_i32 s0, s1, s0
	s_mul_i32 s38, s38, s59
	s_add_i32 s0, s0, s38
	s_mul_i32 s5, s5, s59
	s_mul_hi_u32 s38, s39, s5
	s_mul_i32 s58, s39, s5
	s_mul_i32 s61, s59, s0
	s_mul_hi_u32 s5, s59, s5
	s_mul_hi_u32 s60, s59, s0
	s_add_u32 s5, s5, s61
	s_addc_u32 s60, 0, s60
	s_add_u32 s5, s5, s58
	s_mul_hi_u32 s1, s39, s0
	s_addc_u32 s5, s60, s38
	s_addc_u32 s1, s1, 0
	s_mul_i32 s0, s39, s0
	s_add_u32 s0, s5, s0
	s_addc_u32 s5, 0, s1
	s_add_u32 s38, s59, s0
	s_cselect_b64 s[0:1], -1, 0
	v_ashrrev_i32_e32 v3, 31, v9
	s_cmp_lg_u64 s[0:1], 0
	v_add_co_u32_e32 v10, vcc, v8, v3
	s_addc_u32 s5, s39, s5
	v_xor_b32_e32 v14, v10, v3
	v_mad_u64_u32 v[10:11], s[0:1], v14, s5, 0
	v_mul_hi_u32 v13, v14, s38
	v_addc_co_u32_e32 v12, vcc, v9, v3, vcc
	v_xor_b32_e32 v15, v12, v3
	v_add_co_u32_e32 v16, vcc, v13, v10
	v_addc_co_u32_e32 v17, vcc, 0, v11, vcc
	v_mad_u64_u32 v[10:11], s[0:1], v15, s38, 0
	v_mad_u64_u32 v[12:13], s[0:1], v15, s5, 0
	v_add_co_u32_e32 v10, vcc, v16, v10
	v_addc_co_u32_e32 v10, vcc, v17, v11, vcc
	v_addc_co_u32_e32 v11, vcc, 0, v13, vcc
	v_add_co_u32_e32 v12, vcc, v10, v12
	v_addc_co_u32_e32 v13, vcc, 0, v11, vcc
	v_mul_lo_u32 v16, s27, v12
	v_mul_lo_u32 v17, s26, v13
	v_mad_u64_u32 v[10:11], s[0:1], s26, v12, 0
	v_xor_b32_e32 v3, s4, v3
	v_add3_u32 v11, v11, v17, v16
	v_sub_u32_e32 v16, v15, v11
	v_mov_b32_e32 v17, s27
	v_sub_co_u32_e32 v10, vcc, v14, v10
	v_subb_co_u32_e64 v14, s[0:1], v16, v17, vcc
	v_subrev_co_u32_e64 v16, s[0:1], s26, v10
	v_subbrev_co_u32_e64 v14, s[0:1], 0, v14, s[0:1]
	v_cmp_le_u32_e64 s[0:1], s27, v14
	v_cndmask_b32_e64 v17, 0, -1, s[0:1]
	v_cmp_le_u32_e64 s[0:1], s26, v16
	v_cndmask_b32_e64 v16, 0, -1, s[0:1]
	v_cmp_eq_u32_e64 s[0:1], s27, v14
	v_cndmask_b32_e64 v14, v17, v16, s[0:1]
	v_add_co_u32_e64 v16, s[0:1], 2, v12
	v_subb_co_u32_e32 v11, vcc, v15, v11, vcc
	v_addc_co_u32_e64 v17, s[0:1], 0, v13, s[0:1]
	v_cmp_le_u32_e32 vcc, s27, v11
	v_add_co_u32_e64 v18, s[0:1], 1, v12
	v_cndmask_b32_e64 v15, 0, -1, vcc
	v_cmp_le_u32_e32 vcc, s26, v10
	v_addc_co_u32_e64 v19, s[0:1], 0, v13, s[0:1]
	v_cndmask_b32_e64 v10, 0, -1, vcc
	v_cmp_eq_u32_e32 vcc, s27, v11
	v_cmp_ne_u32_e64 s[0:1], 0, v14
	v_cndmask_b32_e32 v10, v15, v10, vcc
	v_cndmask_b32_e64 v14, v19, v17, s[0:1]
	v_cmp_ne_u32_e32 vcc, 0, v10
	v_cndmask_b32_e64 v11, v18, v16, s[0:1]
	v_cndmask_b32_e32 v10, v13, v14, vcc
	v_cndmask_b32_e32 v11, v12, v11, vcc
	v_xor_b32_e32 v12, v10, v3
	v_xor_b32_e32 v10, v11, v3
	v_sub_co_u32_e32 v10, vcc, v10, v3
	v_subb_co_u32_e32 v11, vcc, v12, v3, vcc
.LBB7_9:                                ;   in Loop: Header=BB7_3 Depth=1
	s_andn2_saveexec_b64 s[0:1], s[2:3]
	s_cbranch_execz .LBB7_11
; %bb.10:                               ;   in Loop: Header=BB7_3 Depth=1
	v_cvt_f32_u32_e32 v3, s42
	s_sub_i32 s2, 0, s42
	v_rcp_iflag_f32_e32 v3, v3
	v_mul_f32_e32 v3, 0x4f7ffffe, v3
	v_cvt_u32_f32_e32 v3, v3
	v_mul_lo_u32 v10, s2, v3
	v_mul_hi_u32 v10, v3, v10
	v_add_u32_e32 v3, v3, v10
	v_mul_hi_u32 v3, v8, v3
	v_mul_lo_u32 v10, v3, s42
	v_add_u32_e32 v11, 1, v3
	v_sub_u32_e32 v10, v8, v10
	v_subrev_u32_e32 v12, s42, v10
	v_cmp_le_u32_e32 vcc, s42, v10
	v_cndmask_b32_e32 v10, v10, v12, vcc
	v_cndmask_b32_e32 v3, v3, v11, vcc
	v_add_u32_e32 v11, 1, v3
	v_cmp_le_u32_e32 vcc, s42, v10
	v_cndmask_b32_e32 v10, v3, v11, vcc
	v_mov_b32_e32 v11, v2
.LBB7_11:                               ;   in Loop: Header=BB7_3 Depth=1
	s_or_b64 exec, exec, s[0:1]
	v_or_b32_e32 v3, s43, v11
	v_cmp_ne_u64_e32 vcc, 0, v[2:3]
                                        ; implicit-def: $vgpr12_vgpr13
	s_and_saveexec_b64 s[0:1], vcc
	s_xor_b64 s[2:3], exec, s[0:1]
	s_cbranch_execz .LBB7_13
; %bb.12:                               ;   in Loop: Header=BB7_3 Depth=1
	s_ashr_i32 s4, s43, 31
	s_add_u32 s0, s23, s4
	s_mov_b32 s5, s4
	s_addc_u32 s1, s43, s4
	s_xor_b64 s[26:27], s[0:1], s[4:5]
	v_cvt_f32_u32_e32 v3, s26
	v_cvt_f32_u32_e32 v12, s27
	s_sub_u32 s5, 0, s26
	s_subb_u32 s38, 0, s27
	v_mac_f32_e32 v3, 0x4f800000, v12
	v_rcp_f32_e32 v3, v3
	v_mul_f32_e32 v3, 0x5f7ffffc, v3
	v_mul_f32_e32 v12, 0x2f800000, v3
	v_trunc_f32_e32 v12, v12
	v_mac_f32_e32 v3, 0xcf800000, v12
	v_cvt_u32_f32_e32 v12, v12
	v_cvt_u32_f32_e32 v3, v3
	v_readfirstlane_b32 s39, v12
	v_readfirstlane_b32 s0, v3
	s_mul_i32 s1, s5, s39
	s_mul_hi_u32 s59, s5, s0
	s_mul_i32 s58, s38, s0
	s_add_i32 s1, s59, s1
	s_add_i32 s1, s1, s58
	s_mul_i32 s60, s5, s0
	s_mul_i32 s59, s0, s1
	s_mul_hi_u32 s61, s0, s60
	s_mul_hi_u32 s58, s0, s1
	s_add_u32 s59, s61, s59
	s_addc_u32 s58, 0, s58
	s_mul_hi_u32 s62, s39, s60
	s_mul_i32 s60, s39, s60
	s_add_u32 s59, s59, s60
	s_mul_hi_u32 s61, s39, s1
	s_addc_u32 s58, s58, s62
	s_addc_u32 s59, s61, 0
	s_mul_i32 s1, s39, s1
	s_add_u32 s1, s58, s1
	s_addc_u32 s58, 0, s59
	s_add_u32 s59, s0, s1
	s_cselect_b64 s[0:1], -1, 0
	s_cmp_lg_u64 s[0:1], 0
	s_addc_u32 s39, s39, s58
	s_mul_i32 s0, s5, s39
	s_mul_hi_u32 s1, s5, s59
	s_add_i32 s0, s1, s0
	s_mul_i32 s38, s38, s59
	s_add_i32 s0, s0, s38
	s_mul_i32 s5, s5, s59
	s_mul_hi_u32 s38, s39, s5
	s_mul_i32 s58, s39, s5
	s_mul_i32 s61, s59, s0
	s_mul_hi_u32 s5, s59, s5
	s_mul_hi_u32 s60, s59, s0
	s_add_u32 s5, s5, s61
	s_addc_u32 s60, 0, s60
	s_add_u32 s5, s5, s58
	s_mul_hi_u32 s1, s39, s0
	s_addc_u32 s5, s60, s38
	s_addc_u32 s1, s1, 0
	s_mul_i32 s0, s39, s0
	s_add_u32 s0, s5, s0
	s_addc_u32 s5, 0, s1
	s_add_u32 s38, s59, s0
	s_cselect_b64 s[0:1], -1, 0
	v_ashrrev_i32_e32 v3, 31, v11
	s_cmp_lg_u64 s[0:1], 0
	v_add_co_u32_e32 v12, vcc, v10, v3
	s_addc_u32 s5, s39, s5
	v_xor_b32_e32 v16, v12, v3
	v_mad_u64_u32 v[12:13], s[0:1], v16, s5, 0
	v_mul_hi_u32 v15, v16, s38
	v_addc_co_u32_e32 v14, vcc, v11, v3, vcc
	v_xor_b32_e32 v17, v14, v3
	v_add_co_u32_e32 v18, vcc, v15, v12
	v_addc_co_u32_e32 v19, vcc, 0, v13, vcc
	v_mad_u64_u32 v[12:13], s[0:1], v17, s38, 0
	v_mad_u64_u32 v[14:15], s[0:1], v17, s5, 0
	v_add_co_u32_e32 v12, vcc, v18, v12
	v_addc_co_u32_e32 v12, vcc, v19, v13, vcc
	v_addc_co_u32_e32 v13, vcc, 0, v15, vcc
	v_add_co_u32_e32 v14, vcc, v12, v14
	v_addc_co_u32_e32 v15, vcc, 0, v13, vcc
	v_mul_lo_u32 v18, s27, v14
	v_mul_lo_u32 v19, s26, v15
	v_mad_u64_u32 v[12:13], s[0:1], s26, v14, 0
	v_xor_b32_e32 v3, s4, v3
	v_add3_u32 v13, v13, v19, v18
	v_sub_u32_e32 v18, v17, v13
	v_mov_b32_e32 v19, s27
	v_sub_co_u32_e32 v12, vcc, v16, v12
	v_subb_co_u32_e64 v16, s[0:1], v18, v19, vcc
	v_subrev_co_u32_e64 v18, s[0:1], s26, v12
	v_subbrev_co_u32_e64 v16, s[0:1], 0, v16, s[0:1]
	v_cmp_le_u32_e64 s[0:1], s27, v16
	v_cndmask_b32_e64 v19, 0, -1, s[0:1]
	v_cmp_le_u32_e64 s[0:1], s26, v18
	v_cndmask_b32_e64 v18, 0, -1, s[0:1]
	v_cmp_eq_u32_e64 s[0:1], s27, v16
	v_cndmask_b32_e64 v16, v19, v18, s[0:1]
	v_add_co_u32_e64 v18, s[0:1], 2, v14
	v_subb_co_u32_e32 v13, vcc, v17, v13, vcc
	v_addc_co_u32_e64 v19, s[0:1], 0, v15, s[0:1]
	v_cmp_le_u32_e32 vcc, s27, v13
	v_add_co_u32_e64 v20, s[0:1], 1, v14
	v_cndmask_b32_e64 v17, 0, -1, vcc
	v_cmp_le_u32_e32 vcc, s26, v12
	v_addc_co_u32_e64 v21, s[0:1], 0, v15, s[0:1]
	v_cndmask_b32_e64 v12, 0, -1, vcc
	v_cmp_eq_u32_e32 vcc, s27, v13
	v_cmp_ne_u32_e64 s[0:1], 0, v16
	v_cndmask_b32_e32 v12, v17, v12, vcc
	v_cndmask_b32_e64 v16, v21, v19, s[0:1]
	v_cmp_ne_u32_e32 vcc, 0, v12
	v_cndmask_b32_e64 v13, v20, v18, s[0:1]
	v_cndmask_b32_e32 v12, v15, v16, vcc
	v_cndmask_b32_e32 v13, v14, v13, vcc
	v_xor_b32_e32 v14, v12, v3
	v_xor_b32_e32 v12, v13, v3
	v_sub_co_u32_e32 v12, vcc, v12, v3
	v_subb_co_u32_e32 v13, vcc, v14, v3, vcc
.LBB7_13:                               ;   in Loop: Header=BB7_3 Depth=1
	s_andn2_saveexec_b64 s[0:1], s[2:3]
	s_cbranch_execz .LBB7_15
; %bb.14:                               ;   in Loop: Header=BB7_3 Depth=1
	v_cvt_f32_u32_e32 v3, s23
	s_sub_i32 s2, 0, s23
	v_rcp_iflag_f32_e32 v3, v3
	v_mul_f32_e32 v3, 0x4f7ffffe, v3
	v_cvt_u32_f32_e32 v3, v3
	v_mul_lo_u32 v12, s2, v3
	v_mul_hi_u32 v12, v3, v12
	v_add_u32_e32 v3, v3, v12
	v_mul_hi_u32 v3, v10, v3
	v_mul_lo_u32 v12, v3, s23
	v_add_u32_e32 v13, 1, v3
	v_sub_u32_e32 v12, v10, v12
	v_subrev_u32_e32 v14, s23, v12
	v_cmp_le_u32_e32 vcc, s23, v12
	v_cndmask_b32_e32 v12, v12, v14, vcc
	v_cndmask_b32_e32 v3, v3, v13, vcc
	v_add_u32_e32 v13, 1, v3
	v_cmp_le_u32_e32 vcc, s23, v12
	v_cndmask_b32_e32 v12, v3, v13, vcc
	v_mov_b32_e32 v13, v2
.LBB7_15:                               ;   in Loop: Header=BB7_3 Depth=1
	s_or_b64 exec, exec, s[0:1]
	v_mul_lo_u32 v3, v11, s42
	v_mul_lo_u32 v16, v10, s41
	v_mad_u64_u32 v[14:15], s[0:1], v10, s42, 0
	v_mul_lo_u32 v19, v9, s40
	v_mul_lo_u32 v20, v8, s33
	v_add3_u32 v3, v15, v16, v3
	v_mad_u64_u32 v[15:16], s[0:1], v8, s40, 0
	v_sub_co_u32_e32 v17, vcc, v8, v14
	v_subb_co_u32_e32 v18, vcc, v9, v3, vcc
	v_add3_u32 v3, v16, v20, v19
	v_mul_lo_u32 v16, v13, s23
	v_mul_lo_u32 v19, v12, s43
	v_mad_u64_u32 v[8:9], s[0:1], v12, s23, 0
	v_sub_co_u32_e32 v14, vcc, v0, v15
	v_subb_co_u32_e32 v15, vcc, v1, v3, vcc
	v_add3_u32 v3, v9, v19, v16
	v_sub_co_u32_e32 v9, vcc, v10, v8
	v_subb_co_u32_e32 v10, vcc, v11, v3, vcc
	v_mul_lo_u32 v11, v10, s17
	v_mul_lo_u32 v16, v9, s44
	v_mad_u64_u32 v[19:20], s[0:1], v9, s17, 0
	v_mul_lo_u32 v3, v3, s55
	v_mul_lo_u32 v21, v17, s47
	v_add3_u32 v16, v20, v16, v11
	v_mad_u64_u32 v[10:11], s[0:1], v8, s55, v[9:10]
	v_mul_lo_u32 v20, v8, s54
	v_mov_b32_e32 v9, s45
	v_subrev_co_u32_e32 v8, vcc, s46, v19
	v_add3_u32 v3, v3, v11, v20
	v_mul_lo_u32 v20, v10, s41
	v_mad_u64_u32 v[10:11], s[0:1], v10, s42, v[17:18]
	v_mul_lo_u32 v3, v3, s42
	v_subb_co_u32_e32 v9, vcc, v16, v9, vcc
	v_mul_lo_u32 v19, v18, s48
	v_mad_u64_u32 v[16:17], s[0:1], v17, s48, 0
	v_add3_u32 v3, v3, v11, v20
	v_mul_lo_u32 v3, v3, s40
	v_add3_u32 v19, v17, v21, v19
	v_mul_lo_u32 v20, v10, s33
	v_mad_u64_u32 v[17:18], s[0:1], v10, s40, 0
	v_mov_b32_e32 v21, s49
	v_subrev_co_u32_e32 v10, vcc, s50, v16
	v_add3_u32 v18, v18, v20, v3
	v_lshlrev_b64 v[16:17], 1, v[17:18]
	v_subb_co_u32_e32 v11, vcc, v19, v21, vcc
	v_add_co_u32_e32 v3, vcc, v6, v16
	v_addc_co_u32_e32 v18, vcc, v7, v17, vcc
	v_mul_lo_u32 v16, v12, s7
	v_mul_lo_u32 v17, v13, s6
	v_mad_u64_u32 v[12:13], s[0:1], v12, s6, v[8:9]
	v_mul_lo_u32 v19, v15, s52
	v_mul_lo_u32 v21, v14, s51
	v_mad_u64_u32 v[6:7], s[0:1], v14, s52, 0
	v_add3_u32 v13, v17, v13, v16
	v_mul_lo_u32 v20, v12, s15
	v_add3_u32 v7, v7, v21, v19
	v_mad_u64_u32 v[16:17], s[0:1], v12, s14, v[10:11]
	v_mul_lo_u32 v21, v13, s14
	v_mov_b32_e32 v19, s53
	v_subrev_co_u32_e32 v12, vcc, s16, v6
	v_subb_co_u32_e32 v13, vcc, v7, v19, vcc
	v_lshlrev_b64 v[6:7], 1, v[14:15]
	v_add3_u32 v14, v21, v17, v20
	v_mul_lo_u32 v17, v16, s19
	v_mul_lo_u32 v19, v14, s18
	v_mad_u64_u32 v[14:15], s[0:1], v16, s18, 0
	v_add_co_u32_e32 v6, vcc, v3, v6
	v_add3_u32 v15, v15, v17, v19
	v_lshlrev_b64 v[14:15], 1, v[14:15]
	v_addc_co_u32_e32 v7, vcc, v18, v7, vcc
	v_add_co_u32_e32 v3, vcc, v4, v14
	v_addc_co_u32_e32 v14, vcc, v5, v15, vcc
	v_lshlrev_b64 v[4:5], 1, v[12:13]
	s_andn2_b64 vcc, exec, s[28:29]
	v_add_co_u32_e64 v4, s[0:1], v3, v4
	v_addc_co_u32_e64 v5, s[0:1], v14, v5, s[0:1]
	s_cbranch_vccnz .LBB7_2
; %bb.16:                               ;   in Loop: Header=BB7_3 Depth=1
	s_mov_b32 s58, 0
	s_mov_b32 s59, 0
	s_branch .LBB7_18
.LBB7_17:                               ;   in Loop: Header=BB7_18 Depth=2
	s_add_i32 s59, s59, 1
	s_add_i32 s58, s58, s57
	s_cmp_eq_u32 s59, s11
	s_cbranch_scc1 .LBB7_2
.LBB7_18:                               ;   Parent Loop BB7_3 Depth=1
                                        ; =>  This Loop Header: Depth=2
                                        ;       Child Loop BB7_21 Depth 3
                                        ;         Child Loop BB7_24 Depth 4
	s_andn2_b64 vcc, exec, s[30:31]
	s_cbranch_vccnz .LBB7_17
; %bb.19:                               ;   in Loop: Header=BB7_18 Depth=2
	s_mul_i32 s0, s59, s20
	s_ashr_i32 s1, s0, 31
	v_mov_b32_e32 v3, s1
	v_add_co_u32_e32 v14, vcc, s0, v8
	v_addc_co_u32_e32 v15, vcc, v9, v3, vcc
	v_cmp_lt_i64_e64 s[0:1], -1, v[14:15]
	v_cmp_gt_i64_e64 s[2:3], s[6:7], v[14:15]
	s_mov_b32 s60, 0
	s_mov_b32 s61, s58
	s_branch .LBB7_21
.LBB7_20:                               ;   in Loop: Header=BB7_21 Depth=3
	s_add_i32 s60, s60, 1
	s_add_i32 s61, s61, s10
	s_cmp_eq_u32 s60, s12
	s_cbranch_scc1 .LBB7_17
.LBB7_21:                               ;   Parent Loop BB7_3 Depth=1
                                        ;     Parent Loop BB7_18 Depth=2
                                        ; =>    This Loop Header: Depth=3
                                        ;         Child Loop BB7_24 Depth 4
	s_andn2_b64 vcc, exec, s[34:35]
	s_cbranch_vccnz .LBB7_20
; %bb.22:                               ;   in Loop: Header=BB7_21 Depth=3
	s_mul_i32 s4, s60, s21
	s_ashr_i32 s5, s4, 31
	v_mov_b32_e32 v3, s5
	v_add_co_u32_e32 v14, vcc, s4, v10
	v_addc_co_u32_e32 v15, vcc, v11, v3, vcc
	v_cmp_lt_i64_e32 vcc, -1, v[14:15]
	s_mov_b32 s62, 0
	s_and_b64 s[26:27], s[0:1], vcc
	v_cmp_gt_i64_e32 vcc, s[14:15], v[14:15]
	s_mov_b32 s63, s13
	s_branch .LBB7_24
.LBB7_23:                               ;   in Loop: Header=BB7_24 Depth=4
	s_or_b64 exec, exec, s[38:39]
	s_waitcnt vmcnt(0)
	global_store_short v[6:7], v3, off
	v_mov_b32_e32 v3, s37
	s_add_i32 s63, s63, -1
	s_add_i32 s62, s62, s22
	v_add_co_u32_e64 v6, s[4:5], s36, v6
	s_cmp_eq_u32 s63, 0
	v_addc_co_u32_e64 v7, s[4:5], v7, v3, s[4:5]
	s_cbranch_scc1 .LBB7_20
.LBB7_24:                               ;   Parent Loop BB7_3 Depth=1
                                        ;     Parent Loop BB7_18 Depth=2
                                        ;       Parent Loop BB7_21 Depth=3
                                        ; =>      This Inner Loop Header: Depth=4
	s_ashr_i32 s4, s62, 31
	v_mov_b32_e32 v3, s4
	v_add_co_u32_e64 v14, s[4:5], s62, v12
	v_addc_co_u32_e64 v15, s[4:5], v13, v3, s[4:5]
	v_cmp_lt_i64_e64 s[4:5], -1, v[14:15]
	v_mov_b32_e32 v3, 0
	s_and_b64 s[4:5], s[26:27], s[4:5]
	s_and_b64 s[38:39], s[2:3], s[4:5]
	v_cmp_gt_i64_e64 s[4:5], s[18:19], v[14:15]
	s_and_b64 s[38:39], s[38:39], vcc
	s_and_b64 s[4:5], s[38:39], s[4:5]
	s_and_saveexec_b64 s[38:39], s[4:5]
	s_cbranch_execz .LBB7_23
; %bb.25:                               ;   in Loop: Header=BB7_24 Depth=4
	s_add_i32 s4, s61, s62
	s_ashr_i32 s5, s4, 31
	s_lshl_b64 s[4:5], s[4:5], 1
	v_mov_b32_e32 v3, s5
	v_add_co_u32_e64 v14, s[4:5], s4, v4
	v_addc_co_u32_e64 v15, s[4:5], v5, v3, s[4:5]
	global_load_ushort v3, v[14:15], off
	s_branch .LBB7_23
.LBB7_26:
	s_endpgm
	.section	.rodata,"a",@progbits
	.p2align	6, 0x0
	.amdhsa_kernel _ZN2at6native14vol2col_kernelIN3c108BFloat16EEEvlPKT_iiiiiiiiiiiiiiiiiiPS4_
		.amdhsa_group_segment_fixed_size 0
		.amdhsa_private_segment_fixed_size 0
		.amdhsa_kernarg_size 352
		.amdhsa_user_sgpr_count 6
		.amdhsa_user_sgpr_private_segment_buffer 1
		.amdhsa_user_sgpr_dispatch_ptr 0
		.amdhsa_user_sgpr_queue_ptr 0
		.amdhsa_user_sgpr_kernarg_segment_ptr 1
		.amdhsa_user_sgpr_dispatch_id 0
		.amdhsa_user_sgpr_flat_scratch_init 0
		.amdhsa_user_sgpr_private_segment_size 0
		.amdhsa_uses_dynamic_stack 0
		.amdhsa_system_sgpr_private_segment_wavefront_offset 0
		.amdhsa_system_sgpr_workgroup_id_x 1
		.amdhsa_system_sgpr_workgroup_id_y 0
		.amdhsa_system_sgpr_workgroup_id_z 0
		.amdhsa_system_sgpr_workgroup_info 0
		.amdhsa_system_vgpr_workitem_id 0
		.amdhsa_next_free_vgpr 22
		.amdhsa_next_free_sgpr 64
		.amdhsa_reserve_vcc 1
		.amdhsa_reserve_flat_scratch 0
		.amdhsa_float_round_mode_32 0
		.amdhsa_float_round_mode_16_64 0
		.amdhsa_float_denorm_mode_32 3
		.amdhsa_float_denorm_mode_16_64 3
		.amdhsa_dx10_clamp 1
		.amdhsa_ieee_mode 1
		.amdhsa_fp16_overflow 0
		.amdhsa_exception_fp_ieee_invalid_op 0
		.amdhsa_exception_fp_denorm_src 0
		.amdhsa_exception_fp_ieee_div_zero 0
		.amdhsa_exception_fp_ieee_overflow 0
		.amdhsa_exception_fp_ieee_underflow 0
		.amdhsa_exception_fp_ieee_inexact 0
		.amdhsa_exception_int_div_zero 0
	.end_amdhsa_kernel
	.section	.text._ZN2at6native14vol2col_kernelIN3c108BFloat16EEEvlPKT_iiiiiiiiiiiiiiiiiiPS4_,"axG",@progbits,_ZN2at6native14vol2col_kernelIN3c108BFloat16EEEvlPKT_iiiiiiiiiiiiiiiiiiPS4_,comdat
.Lfunc_end7:
	.size	_ZN2at6native14vol2col_kernelIN3c108BFloat16EEEvlPKT_iiiiiiiiiiiiiiiiiiPS4_, .Lfunc_end7-_ZN2at6native14vol2col_kernelIN3c108BFloat16EEEvlPKT_iiiiiiiiiiiiiiiiiiPS4_
                                        ; -- End function
	.set _ZN2at6native14vol2col_kernelIN3c108BFloat16EEEvlPKT_iiiiiiiiiiiiiiiiiiPS4_.num_vgpr, 22
	.set _ZN2at6native14vol2col_kernelIN3c108BFloat16EEEvlPKT_iiiiiiiiiiiiiiiiiiPS4_.num_agpr, 0
	.set _ZN2at6native14vol2col_kernelIN3c108BFloat16EEEvlPKT_iiiiiiiiiiiiiiiiiiPS4_.numbered_sgpr, 64
	.set _ZN2at6native14vol2col_kernelIN3c108BFloat16EEEvlPKT_iiiiiiiiiiiiiiiiiiPS4_.num_named_barrier, 0
	.set _ZN2at6native14vol2col_kernelIN3c108BFloat16EEEvlPKT_iiiiiiiiiiiiiiiiiiPS4_.private_seg_size, 0
	.set _ZN2at6native14vol2col_kernelIN3c108BFloat16EEEvlPKT_iiiiiiiiiiiiiiiiiiPS4_.uses_vcc, 1
	.set _ZN2at6native14vol2col_kernelIN3c108BFloat16EEEvlPKT_iiiiiiiiiiiiiiiiiiPS4_.uses_flat_scratch, 0
	.set _ZN2at6native14vol2col_kernelIN3c108BFloat16EEEvlPKT_iiiiiiiiiiiiiiiiiiPS4_.has_dyn_sized_stack, 0
	.set _ZN2at6native14vol2col_kernelIN3c108BFloat16EEEvlPKT_iiiiiiiiiiiiiiiiiiPS4_.has_recursion, 0
	.set _ZN2at6native14vol2col_kernelIN3c108BFloat16EEEvlPKT_iiiiiiiiiiiiiiiiiiPS4_.has_indirect_call, 0
	.section	.AMDGPU.csdata,"",@progbits
; Kernel info:
; codeLenInByte = 3376
; TotalNumSgprs: 68
; NumVgprs: 22
; ScratchSize: 0
; MemoryBound: 0
; FloatMode: 240
; IeeeMode: 1
; LDSByteSize: 0 bytes/workgroup (compile time only)
; SGPRBlocks: 8
; VGPRBlocks: 5
; NumSGPRsForWavesPerEU: 68
; NumVGPRsForWavesPerEU: 22
; Occupancy: 10
; WaveLimiterHint : 0
; COMPUTE_PGM_RSRC2:SCRATCH_EN: 0
; COMPUTE_PGM_RSRC2:USER_SGPR: 6
; COMPUTE_PGM_RSRC2:TRAP_HANDLER: 0
; COMPUTE_PGM_RSRC2:TGID_X_EN: 1
; COMPUTE_PGM_RSRC2:TGID_Y_EN: 0
; COMPUTE_PGM_RSRC2:TGID_Z_EN: 0
; COMPUTE_PGM_RSRC2:TIDIG_COMP_CNT: 0
	.section	.AMDGPU.gpr_maximums,"",@progbits
	.set amdgpu.max_num_vgpr, 0
	.set amdgpu.max_num_agpr, 0
	.set amdgpu.max_num_sgpr, 0
	.section	.AMDGPU.csdata,"",@progbits
	.type	__hip_cuid_7c4db8273efc78f3,@object ; @__hip_cuid_7c4db8273efc78f3
	.section	.bss,"aw",@nobits
	.globl	__hip_cuid_7c4db8273efc78f3
__hip_cuid_7c4db8273efc78f3:
	.byte	0                               ; 0x0
	.size	__hip_cuid_7c4db8273efc78f3, 1

	.ident	"AMD clang version 22.0.0git (https://github.com/RadeonOpenCompute/llvm-project roc-7.2.4 26084 f58b06dce1f9c15707c5f808fd002e18c2accf7e)"
	.section	".note.GNU-stack","",@progbits
	.addrsig
	.addrsig_sym __hip_cuid_7c4db8273efc78f3
	.amdgpu_metadata
---
amdhsa.kernels:
  - .args:
      - .offset:         0
        .size:           8
        .value_kind:     by_value
      - .address_space:  global
        .offset:         8
        .size:           8
        .value_kind:     global_buffer
      - .offset:         16
        .size:           4
        .value_kind:     by_value
      - .offset:         20
        .size:           4
        .value_kind:     by_value
      - .offset:         24
        .size:           4
        .value_kind:     by_value
      - .offset:         28
        .size:           4
        .value_kind:     by_value
      - .offset:         32
        .size:           4
        .value_kind:     by_value
      - .offset:         36
        .size:           4
        .value_kind:     by_value
      - .offset:         40
        .size:           4
        .value_kind:     by_value
      - .offset:         44
        .size:           4
        .value_kind:     by_value
      - .offset:         48
        .size:           4
        .value_kind:     by_value
      - .offset:         52
        .size:           4
        .value_kind:     by_value
      - .offset:         56
        .size:           4
        .value_kind:     by_value
      - .offset:         60
        .size:           4
        .value_kind:     by_value
      - .offset:         64
        .size:           4
        .value_kind:     by_value
      - .offset:         68
        .size:           4
        .value_kind:     by_value
      - .offset:         72
        .size:           4
        .value_kind:     by_value
      - .offset:         76
        .size:           4
        .value_kind:     by_value
      - .offset:         80
        .size:           4
        .value_kind:     by_value
      - .offset:         84
        .size:           4
        .value_kind:     by_value
      - .offset:         88
        .size:           4
        .value_kind:     by_value
      - .address_space:  global
        .offset:         96
        .size:           8
        .value_kind:     global_buffer
      - .offset:         104
        .size:           4
        .value_kind:     hidden_block_count_x
      - .offset:         108
        .size:           4
        .value_kind:     hidden_block_count_y
      - .offset:         112
        .size:           4
        .value_kind:     hidden_block_count_z
      - .offset:         116
        .size:           2
        .value_kind:     hidden_group_size_x
      - .offset:         118
        .size:           2
        .value_kind:     hidden_group_size_y
      - .offset:         120
        .size:           2
        .value_kind:     hidden_group_size_z
      - .offset:         122
        .size:           2
        .value_kind:     hidden_remainder_x
      - .offset:         124
        .size:           2
        .value_kind:     hidden_remainder_y
      - .offset:         126
        .size:           2
        .value_kind:     hidden_remainder_z
      - .offset:         144
        .size:           8
        .value_kind:     hidden_global_offset_x
      - .offset:         152
        .size:           8
        .value_kind:     hidden_global_offset_y
      - .offset:         160
        .size:           8
        .value_kind:     hidden_global_offset_z
      - .offset:         168
        .size:           2
        .value_kind:     hidden_grid_dims
    .group_segment_fixed_size: 0
    .kernarg_segment_align: 8
    .kernarg_segment_size: 360
    .language:       OpenCL C
    .language_version:
      - 2
      - 0
    .max_flat_workgroup_size: 1024
    .name:           _ZN2at6native13vol2im_kernelIddEEvlPKT_jjjjjjjjjjjjjjjjjjjPS2_
    .private_segment_fixed_size: 0
    .sgpr_count:     66
    .sgpr_spill_count: 0
    .symbol:         _ZN2at6native13vol2im_kernelIddEEvlPKT_jjjjjjjjjjjjjjjjjjjPS2_.kd
    .uniform_work_group_size: 1
    .uses_dynamic_stack: false
    .vgpr_count:     44
    .vgpr_spill_count: 0
    .wavefront_size: 64
  - .args:
      - .offset:         0
        .size:           8
        .value_kind:     by_value
      - .address_space:  global
        .offset:         8
        .size:           8
        .value_kind:     global_buffer
      - .offset:         16
        .size:           4
        .value_kind:     by_value
      - .offset:         20
        .size:           4
        .value_kind:     by_value
      - .offset:         24
        .size:           4
        .value_kind:     by_value
      - .offset:         28
        .size:           4
        .value_kind:     by_value
      - .offset:         32
        .size:           4
        .value_kind:     by_value
      - .offset:         36
        .size:           4
        .value_kind:     by_value
      - .offset:         40
        .size:           4
        .value_kind:     by_value
      - .offset:         44
        .size:           4
        .value_kind:     by_value
      - .offset:         48
        .size:           4
        .value_kind:     by_value
      - .offset:         52
        .size:           4
        .value_kind:     by_value
      - .offset:         56
        .size:           4
        .value_kind:     by_value
      - .offset:         60
        .size:           4
        .value_kind:     by_value
      - .offset:         64
        .size:           4
        .value_kind:     by_value
      - .offset:         68
        .size:           4
        .value_kind:     by_value
      - .offset:         72
        .size:           4
        .value_kind:     by_value
      - .offset:         76
        .size:           4
        .value_kind:     by_value
      - .offset:         80
        .size:           4
        .value_kind:     by_value
      - .offset:         84
        .size:           4
        .value_kind:     by_value
      - .offset:         88
        .size:           4
        .value_kind:     by_value
      - .address_space:  global
        .offset:         96
        .size:           8
        .value_kind:     global_buffer
      - .offset:         104
        .size:           4
        .value_kind:     hidden_block_count_x
      - .offset:         108
        .size:           4
        .value_kind:     hidden_block_count_y
      - .offset:         112
        .size:           4
        .value_kind:     hidden_block_count_z
      - .offset:         116
        .size:           2
        .value_kind:     hidden_group_size_x
      - .offset:         118
        .size:           2
        .value_kind:     hidden_group_size_y
      - .offset:         120
        .size:           2
        .value_kind:     hidden_group_size_z
      - .offset:         122
        .size:           2
        .value_kind:     hidden_remainder_x
      - .offset:         124
        .size:           2
        .value_kind:     hidden_remainder_y
      - .offset:         126
        .size:           2
        .value_kind:     hidden_remainder_z
      - .offset:         144
        .size:           8
        .value_kind:     hidden_global_offset_x
      - .offset:         152
        .size:           8
        .value_kind:     hidden_global_offset_y
      - .offset:         160
        .size:           8
        .value_kind:     hidden_global_offset_z
      - .offset:         168
        .size:           2
        .value_kind:     hidden_grid_dims
    .group_segment_fixed_size: 0
    .kernarg_segment_align: 8
    .kernarg_segment_size: 360
    .language:       OpenCL C
    .language_version:
      - 2
      - 0
    .max_flat_workgroup_size: 1024
    .name:           _ZN2at6native13vol2im_kernelIffEEvlPKT_jjjjjjjjjjjjjjjjjjjPS2_
    .private_segment_fixed_size: 0
    .sgpr_count:     66
    .sgpr_spill_count: 0
    .symbol:         _ZN2at6native13vol2im_kernelIffEEvlPKT_jjjjjjjjjjjjjjjjjjjPS2_.kd
    .uniform_work_group_size: 1
    .uses_dynamic_stack: false
    .vgpr_count:     43
    .vgpr_spill_count: 0
    .wavefront_size: 64
  - .args:
      - .offset:         0
        .size:           8
        .value_kind:     by_value
      - .address_space:  global
        .offset:         8
        .size:           8
        .value_kind:     global_buffer
      - .offset:         16
        .size:           4
        .value_kind:     by_value
      - .offset:         20
        .size:           4
        .value_kind:     by_value
      - .offset:         24
        .size:           4
        .value_kind:     by_value
      - .offset:         28
        .size:           4
        .value_kind:     by_value
      - .offset:         32
        .size:           4
        .value_kind:     by_value
      - .offset:         36
        .size:           4
        .value_kind:     by_value
      - .offset:         40
        .size:           4
        .value_kind:     by_value
      - .offset:         44
        .size:           4
        .value_kind:     by_value
      - .offset:         48
        .size:           4
        .value_kind:     by_value
      - .offset:         52
        .size:           4
        .value_kind:     by_value
      - .offset:         56
        .size:           4
        .value_kind:     by_value
      - .offset:         60
        .size:           4
        .value_kind:     by_value
      - .offset:         64
        .size:           4
        .value_kind:     by_value
      - .offset:         68
        .size:           4
        .value_kind:     by_value
      - .offset:         72
        .size:           4
        .value_kind:     by_value
      - .offset:         76
        .size:           4
        .value_kind:     by_value
      - .offset:         80
        .size:           4
        .value_kind:     by_value
      - .offset:         84
        .size:           4
        .value_kind:     by_value
      - .offset:         88
        .size:           4
        .value_kind:     by_value
      - .address_space:  global
        .offset:         96
        .size:           8
        .value_kind:     global_buffer
      - .offset:         104
        .size:           4
        .value_kind:     hidden_block_count_x
      - .offset:         108
        .size:           4
        .value_kind:     hidden_block_count_y
      - .offset:         112
        .size:           4
        .value_kind:     hidden_block_count_z
      - .offset:         116
        .size:           2
        .value_kind:     hidden_group_size_x
      - .offset:         118
        .size:           2
        .value_kind:     hidden_group_size_y
      - .offset:         120
        .size:           2
        .value_kind:     hidden_group_size_z
      - .offset:         122
        .size:           2
        .value_kind:     hidden_remainder_x
      - .offset:         124
        .size:           2
        .value_kind:     hidden_remainder_y
      - .offset:         126
        .size:           2
        .value_kind:     hidden_remainder_z
      - .offset:         144
        .size:           8
        .value_kind:     hidden_global_offset_x
      - .offset:         152
        .size:           8
        .value_kind:     hidden_global_offset_y
      - .offset:         160
        .size:           8
        .value_kind:     hidden_global_offset_z
      - .offset:         168
        .size:           2
        .value_kind:     hidden_grid_dims
    .group_segment_fixed_size: 0
    .kernarg_segment_align: 8
    .kernarg_segment_size: 360
    .language:       OpenCL C
    .language_version:
      - 2
      - 0
    .max_flat_workgroup_size: 1024
    .name:           _ZN2at6native13vol2im_kernelIN3c104HalfEfEEvlPKT_jjjjjjjjjjjjjjjjjjjPS4_
    .private_segment_fixed_size: 0
    .sgpr_count:     66
    .sgpr_spill_count: 0
    .symbol:         _ZN2at6native13vol2im_kernelIN3c104HalfEfEEvlPKT_jjjjjjjjjjjjjjjjjjjPS4_.kd
    .uniform_work_group_size: 1
    .uses_dynamic_stack: false
    .vgpr_count:     43
    .vgpr_spill_count: 0
    .wavefront_size: 64
  - .args:
      - .offset:         0
        .size:           8
        .value_kind:     by_value
      - .address_space:  global
        .offset:         8
        .size:           8
        .value_kind:     global_buffer
      - .offset:         16
        .size:           4
        .value_kind:     by_value
      - .offset:         20
        .size:           4
        .value_kind:     by_value
      - .offset:         24
        .size:           4
        .value_kind:     by_value
      - .offset:         28
        .size:           4
        .value_kind:     by_value
      - .offset:         32
        .size:           4
        .value_kind:     by_value
      - .offset:         36
        .size:           4
        .value_kind:     by_value
      - .offset:         40
        .size:           4
        .value_kind:     by_value
      - .offset:         44
        .size:           4
        .value_kind:     by_value
      - .offset:         48
        .size:           4
        .value_kind:     by_value
      - .offset:         52
        .size:           4
        .value_kind:     by_value
      - .offset:         56
        .size:           4
        .value_kind:     by_value
      - .offset:         60
        .size:           4
        .value_kind:     by_value
      - .offset:         64
        .size:           4
        .value_kind:     by_value
      - .offset:         68
        .size:           4
        .value_kind:     by_value
      - .offset:         72
        .size:           4
        .value_kind:     by_value
      - .offset:         76
        .size:           4
        .value_kind:     by_value
      - .offset:         80
        .size:           4
        .value_kind:     by_value
      - .offset:         84
        .size:           4
        .value_kind:     by_value
      - .offset:         88
        .size:           4
        .value_kind:     by_value
      - .address_space:  global
        .offset:         96
        .size:           8
        .value_kind:     global_buffer
      - .offset:         104
        .size:           4
        .value_kind:     hidden_block_count_x
      - .offset:         108
        .size:           4
        .value_kind:     hidden_block_count_y
      - .offset:         112
        .size:           4
        .value_kind:     hidden_block_count_z
      - .offset:         116
        .size:           2
        .value_kind:     hidden_group_size_x
      - .offset:         118
        .size:           2
        .value_kind:     hidden_group_size_y
      - .offset:         120
        .size:           2
        .value_kind:     hidden_group_size_z
      - .offset:         122
        .size:           2
        .value_kind:     hidden_remainder_x
      - .offset:         124
        .size:           2
        .value_kind:     hidden_remainder_y
      - .offset:         126
        .size:           2
        .value_kind:     hidden_remainder_z
      - .offset:         144
        .size:           8
        .value_kind:     hidden_global_offset_x
      - .offset:         152
        .size:           8
        .value_kind:     hidden_global_offset_y
      - .offset:         160
        .size:           8
        .value_kind:     hidden_global_offset_z
      - .offset:         168
        .size:           2
        .value_kind:     hidden_grid_dims
    .group_segment_fixed_size: 0
    .kernarg_segment_align: 8
    .kernarg_segment_size: 360
    .language:       OpenCL C
    .language_version:
      - 2
      - 0
    .max_flat_workgroup_size: 1024
    .name:           _ZN2at6native13vol2im_kernelIN3c108BFloat16EfEEvlPKT_jjjjjjjjjjjjjjjjjjjPS4_
    .private_segment_fixed_size: 0
    .sgpr_count:     66
    .sgpr_spill_count: 0
    .symbol:         _ZN2at6native13vol2im_kernelIN3c108BFloat16EfEEvlPKT_jjjjjjjjjjjjjjjjjjjPS4_.kd
    .uniform_work_group_size: 1
    .uses_dynamic_stack: false
    .vgpr_count:     44
    .vgpr_spill_count: 0
    .wavefront_size: 64
  - .args:
      - .offset:         0
        .size:           8
        .value_kind:     by_value
      - .address_space:  global
        .offset:         8
        .size:           8
        .value_kind:     global_buffer
      - .offset:         16
        .size:           4
        .value_kind:     by_value
      - .offset:         20
        .size:           4
        .value_kind:     by_value
      - .offset:         24
        .size:           4
        .value_kind:     by_value
      - .offset:         28
        .size:           4
        .value_kind:     by_value
      - .offset:         32
        .size:           4
        .value_kind:     by_value
      - .offset:         36
        .size:           4
        .value_kind:     by_value
      - .offset:         40
        .size:           4
        .value_kind:     by_value
      - .offset:         44
        .size:           4
        .value_kind:     by_value
      - .offset:         48
        .size:           4
        .value_kind:     by_value
      - .offset:         52
        .size:           4
        .value_kind:     by_value
      - .offset:         56
        .size:           4
        .value_kind:     by_value
      - .offset:         60
        .size:           4
        .value_kind:     by_value
      - .offset:         64
        .size:           4
        .value_kind:     by_value
      - .offset:         68
        .size:           4
        .value_kind:     by_value
      - .offset:         72
        .size:           4
        .value_kind:     by_value
      - .offset:         76
        .size:           4
        .value_kind:     by_value
      - .offset:         80
        .size:           4
        .value_kind:     by_value
      - .offset:         84
        .size:           4
        .value_kind:     by_value
      - .address_space:  global
        .offset:         88
        .size:           8
        .value_kind:     global_buffer
      - .offset:         96
        .size:           4
        .value_kind:     hidden_block_count_x
      - .offset:         100
        .size:           4
        .value_kind:     hidden_block_count_y
      - .offset:         104
        .size:           4
        .value_kind:     hidden_block_count_z
      - .offset:         108
        .size:           2
        .value_kind:     hidden_group_size_x
      - .offset:         110
        .size:           2
        .value_kind:     hidden_group_size_y
      - .offset:         112
        .size:           2
        .value_kind:     hidden_group_size_z
      - .offset:         114
        .size:           2
        .value_kind:     hidden_remainder_x
      - .offset:         116
        .size:           2
        .value_kind:     hidden_remainder_y
      - .offset:         118
        .size:           2
        .value_kind:     hidden_remainder_z
      - .offset:         136
        .size:           8
        .value_kind:     hidden_global_offset_x
      - .offset:         144
        .size:           8
        .value_kind:     hidden_global_offset_y
      - .offset:         152
        .size:           8
        .value_kind:     hidden_global_offset_z
      - .offset:         160
        .size:           2
        .value_kind:     hidden_grid_dims
    .group_segment_fixed_size: 0
    .kernarg_segment_align: 8
    .kernarg_segment_size: 352
    .language:       OpenCL C
    .language_version:
      - 2
      - 0
    .max_flat_workgroup_size: 1024
    .name:           _ZN2at6native14vol2col_kernelIdEEvlPKT_iiiiiiiiiiiiiiiiiiPS2_
    .private_segment_fixed_size: 0
    .sgpr_count:     68
    .sgpr_spill_count: 0
    .symbol:         _ZN2at6native14vol2col_kernelIdEEvlPKT_iiiiiiiiiiiiiiiiiiPS2_.kd
    .uniform_work_group_size: 1
    .uses_dynamic_stack: false
    .vgpr_count:     22
    .vgpr_spill_count: 0
    .wavefront_size: 64
  - .args:
      - .offset:         0
        .size:           8
        .value_kind:     by_value
      - .address_space:  global
        .offset:         8
        .size:           8
        .value_kind:     global_buffer
      - .offset:         16
        .size:           4
        .value_kind:     by_value
      - .offset:         20
        .size:           4
        .value_kind:     by_value
      - .offset:         24
        .size:           4
        .value_kind:     by_value
      - .offset:         28
        .size:           4
        .value_kind:     by_value
      - .offset:         32
        .size:           4
        .value_kind:     by_value
      - .offset:         36
        .size:           4
        .value_kind:     by_value
      - .offset:         40
        .size:           4
        .value_kind:     by_value
      - .offset:         44
        .size:           4
        .value_kind:     by_value
      - .offset:         48
        .size:           4
        .value_kind:     by_value
      - .offset:         52
        .size:           4
        .value_kind:     by_value
      - .offset:         56
        .size:           4
        .value_kind:     by_value
      - .offset:         60
        .size:           4
        .value_kind:     by_value
      - .offset:         64
        .size:           4
        .value_kind:     by_value
      - .offset:         68
        .size:           4
        .value_kind:     by_value
      - .offset:         72
        .size:           4
        .value_kind:     by_value
      - .offset:         76
        .size:           4
        .value_kind:     by_value
      - .offset:         80
        .size:           4
        .value_kind:     by_value
      - .offset:         84
        .size:           4
        .value_kind:     by_value
      - .address_space:  global
        .offset:         88
        .size:           8
        .value_kind:     global_buffer
      - .offset:         96
        .size:           4
        .value_kind:     hidden_block_count_x
      - .offset:         100
        .size:           4
        .value_kind:     hidden_block_count_y
      - .offset:         104
        .size:           4
        .value_kind:     hidden_block_count_z
      - .offset:         108
        .size:           2
        .value_kind:     hidden_group_size_x
      - .offset:         110
        .size:           2
        .value_kind:     hidden_group_size_y
      - .offset:         112
        .size:           2
        .value_kind:     hidden_group_size_z
      - .offset:         114
        .size:           2
        .value_kind:     hidden_remainder_x
      - .offset:         116
        .size:           2
        .value_kind:     hidden_remainder_y
      - .offset:         118
        .size:           2
        .value_kind:     hidden_remainder_z
      - .offset:         136
        .size:           8
        .value_kind:     hidden_global_offset_x
      - .offset:         144
        .size:           8
        .value_kind:     hidden_global_offset_y
      - .offset:         152
        .size:           8
        .value_kind:     hidden_global_offset_z
      - .offset:         160
        .size:           2
        .value_kind:     hidden_grid_dims
    .group_segment_fixed_size: 0
    .kernarg_segment_align: 8
    .kernarg_segment_size: 352
    .language:       OpenCL C
    .language_version:
      - 2
      - 0
    .max_flat_workgroup_size: 1024
    .name:           _ZN2at6native14vol2col_kernelIfEEvlPKT_iiiiiiiiiiiiiiiiiiPS2_
    .private_segment_fixed_size: 0
    .sgpr_count:     68
    .sgpr_spill_count: 0
    .symbol:         _ZN2at6native14vol2col_kernelIfEEvlPKT_iiiiiiiiiiiiiiiiiiPS2_.kd
    .uniform_work_group_size: 1
    .uses_dynamic_stack: false
    .vgpr_count:     22
    .vgpr_spill_count: 0
    .wavefront_size: 64
  - .args:
      - .offset:         0
        .size:           8
        .value_kind:     by_value
      - .address_space:  global
        .offset:         8
        .size:           8
        .value_kind:     global_buffer
      - .offset:         16
        .size:           4
        .value_kind:     by_value
      - .offset:         20
        .size:           4
        .value_kind:     by_value
      - .offset:         24
        .size:           4
        .value_kind:     by_value
      - .offset:         28
        .size:           4
        .value_kind:     by_value
      - .offset:         32
        .size:           4
        .value_kind:     by_value
      - .offset:         36
        .size:           4
        .value_kind:     by_value
      - .offset:         40
        .size:           4
        .value_kind:     by_value
      - .offset:         44
        .size:           4
        .value_kind:     by_value
      - .offset:         48
        .size:           4
        .value_kind:     by_value
      - .offset:         52
        .size:           4
        .value_kind:     by_value
      - .offset:         56
        .size:           4
        .value_kind:     by_value
      - .offset:         60
        .size:           4
        .value_kind:     by_value
      - .offset:         64
        .size:           4
        .value_kind:     by_value
      - .offset:         68
        .size:           4
        .value_kind:     by_value
      - .offset:         72
        .size:           4
        .value_kind:     by_value
      - .offset:         76
        .size:           4
        .value_kind:     by_value
      - .offset:         80
        .size:           4
        .value_kind:     by_value
      - .offset:         84
        .size:           4
        .value_kind:     by_value
      - .address_space:  global
        .offset:         88
        .size:           8
        .value_kind:     global_buffer
      - .offset:         96
        .size:           4
        .value_kind:     hidden_block_count_x
      - .offset:         100
        .size:           4
        .value_kind:     hidden_block_count_y
      - .offset:         104
        .size:           4
        .value_kind:     hidden_block_count_z
      - .offset:         108
        .size:           2
        .value_kind:     hidden_group_size_x
      - .offset:         110
        .size:           2
        .value_kind:     hidden_group_size_y
      - .offset:         112
        .size:           2
        .value_kind:     hidden_group_size_z
      - .offset:         114
        .size:           2
        .value_kind:     hidden_remainder_x
      - .offset:         116
        .size:           2
        .value_kind:     hidden_remainder_y
      - .offset:         118
        .size:           2
        .value_kind:     hidden_remainder_z
      - .offset:         136
        .size:           8
        .value_kind:     hidden_global_offset_x
      - .offset:         144
        .size:           8
        .value_kind:     hidden_global_offset_y
      - .offset:         152
        .size:           8
        .value_kind:     hidden_global_offset_z
      - .offset:         160
        .size:           2
        .value_kind:     hidden_grid_dims
    .group_segment_fixed_size: 0
    .kernarg_segment_align: 8
    .kernarg_segment_size: 352
    .language:       OpenCL C
    .language_version:
      - 2
      - 0
    .max_flat_workgroup_size: 1024
    .name:           _ZN2at6native14vol2col_kernelIN3c104HalfEEEvlPKT_iiiiiiiiiiiiiiiiiiPS4_
    .private_segment_fixed_size: 0
    .sgpr_count:     68
    .sgpr_spill_count: 0
    .symbol:         _ZN2at6native14vol2col_kernelIN3c104HalfEEEvlPKT_iiiiiiiiiiiiiiiiiiPS4_.kd
    .uniform_work_group_size: 1
    .uses_dynamic_stack: false
    .vgpr_count:     22
    .vgpr_spill_count: 0
    .wavefront_size: 64
  - .args:
      - .offset:         0
        .size:           8
        .value_kind:     by_value
      - .address_space:  global
        .offset:         8
        .size:           8
        .value_kind:     global_buffer
      - .offset:         16
        .size:           4
        .value_kind:     by_value
      - .offset:         20
        .size:           4
        .value_kind:     by_value
      - .offset:         24
        .size:           4
        .value_kind:     by_value
      - .offset:         28
        .size:           4
        .value_kind:     by_value
      - .offset:         32
        .size:           4
        .value_kind:     by_value
      - .offset:         36
        .size:           4
        .value_kind:     by_value
      - .offset:         40
        .size:           4
        .value_kind:     by_value
      - .offset:         44
        .size:           4
        .value_kind:     by_value
      - .offset:         48
        .size:           4
        .value_kind:     by_value
      - .offset:         52
        .size:           4
        .value_kind:     by_value
      - .offset:         56
        .size:           4
        .value_kind:     by_value
      - .offset:         60
        .size:           4
        .value_kind:     by_value
      - .offset:         64
        .size:           4
        .value_kind:     by_value
      - .offset:         68
        .size:           4
        .value_kind:     by_value
      - .offset:         72
        .size:           4
        .value_kind:     by_value
      - .offset:         76
        .size:           4
        .value_kind:     by_value
      - .offset:         80
        .size:           4
        .value_kind:     by_value
      - .offset:         84
        .size:           4
        .value_kind:     by_value
      - .address_space:  global
        .offset:         88
        .size:           8
        .value_kind:     global_buffer
      - .offset:         96
        .size:           4
        .value_kind:     hidden_block_count_x
      - .offset:         100
        .size:           4
        .value_kind:     hidden_block_count_y
      - .offset:         104
        .size:           4
        .value_kind:     hidden_block_count_z
      - .offset:         108
        .size:           2
        .value_kind:     hidden_group_size_x
      - .offset:         110
        .size:           2
        .value_kind:     hidden_group_size_y
      - .offset:         112
        .size:           2
        .value_kind:     hidden_group_size_z
      - .offset:         114
        .size:           2
        .value_kind:     hidden_remainder_x
      - .offset:         116
        .size:           2
        .value_kind:     hidden_remainder_y
      - .offset:         118
        .size:           2
        .value_kind:     hidden_remainder_z
      - .offset:         136
        .size:           8
        .value_kind:     hidden_global_offset_x
      - .offset:         144
        .size:           8
        .value_kind:     hidden_global_offset_y
      - .offset:         152
        .size:           8
        .value_kind:     hidden_global_offset_z
      - .offset:         160
        .size:           2
        .value_kind:     hidden_grid_dims
    .group_segment_fixed_size: 0
    .kernarg_segment_align: 8
    .kernarg_segment_size: 352
    .language:       OpenCL C
    .language_version:
      - 2
      - 0
    .max_flat_workgroup_size: 1024
    .name:           _ZN2at6native14vol2col_kernelIN3c108BFloat16EEEvlPKT_iiiiiiiiiiiiiiiiiiPS4_
    .private_segment_fixed_size: 0
    .sgpr_count:     68
    .sgpr_spill_count: 0
    .symbol:         _ZN2at6native14vol2col_kernelIN3c108BFloat16EEEvlPKT_iiiiiiiiiiiiiiiiiiPS4_.kd
    .uniform_work_group_size: 1
    .uses_dynamic_stack: false
    .vgpr_count:     22
    .vgpr_spill_count: 0
    .wavefront_size: 64
amdhsa.target:   amdgcn-amd-amdhsa--gfx906
amdhsa.version:
  - 1
  - 2
...

	.end_amdgpu_metadata
